;; amdgpu-corpus repo=ROCm/rocFFT kind=compiled arch=gfx906 opt=O3
	.text
	.amdgcn_target "amdgcn-amd-amdhsa--gfx906"
	.amdhsa_code_object_version 6
	.protected	fft_rtc_fwd_len320_factors_10_4_4_2_wgs_64_tpt_16_halfLds_dp_op_CI_CI_sbrr_dirReg ; -- Begin function fft_rtc_fwd_len320_factors_10_4_4_2_wgs_64_tpt_16_halfLds_dp_op_CI_CI_sbrr_dirReg
	.globl	fft_rtc_fwd_len320_factors_10_4_4_2_wgs_64_tpt_16_halfLds_dp_op_CI_CI_sbrr_dirReg
	.p2align	8
	.type	fft_rtc_fwd_len320_factors_10_4_4_2_wgs_64_tpt_16_halfLds_dp_op_CI_CI_sbrr_dirReg,@function
fft_rtc_fwd_len320_factors_10_4_4_2_wgs_64_tpt_16_halfLds_dp_op_CI_CI_sbrr_dirReg: ; @fft_rtc_fwd_len320_factors_10_4_4_2_wgs_64_tpt_16_halfLds_dp_op_CI_CI_sbrr_dirReg
; %bb.0:
	s_load_dwordx4 s[16:19], s[4:5], 0x18
	s_load_dwordx4 s[12:15], s[4:5], 0x0
	;; [unrolled: 1-line block ×3, first 2 shown]
	v_lshrrev_b32_e32 v81, 4, v0
	v_mov_b32_e32 v1, 0
	s_waitcnt lgkmcnt(0)
	s_load_dwordx2 s[20:21], s[16:17], 0x0
	s_load_dwordx2 s[2:3], s[18:19], 0x0
	v_cmp_lt_u64_e64 s[0:1], s[14:15], 2
	v_mov_b32_e32 v4, 0
	v_lshl_or_b32 v6, s6, 2, v81
	v_mov_b32_e32 v7, v1
	s_and_b64 vcc, exec, s[0:1]
	v_mov_b32_e32 v5, 0
	s_cbranch_vccnz .LBB0_8
; %bb.1:
	s_load_dwordx2 s[0:1], s[4:5], 0x10
	s_add_u32 s6, s18, 8
	s_addc_u32 s7, s19, 0
	s_add_u32 s22, s16, 8
	v_mov_b32_e32 v4, 0
	s_addc_u32 s23, s17, 0
	v_mov_b32_e32 v5, 0
	s_waitcnt lgkmcnt(0)
	s_add_u32 s24, s0, 8
	v_mov_b32_e32 v83, v5
	s_addc_u32 s25, s1, 0
	s_mov_b64 s[26:27], 1
	v_mov_b32_e32 v82, v4
.LBB0_2:                                ; =>This Inner Loop Header: Depth=1
	s_load_dwordx2 s[28:29], s[24:25], 0x0
                                        ; implicit-def: $vgpr84_vgpr85
	s_waitcnt lgkmcnt(0)
	v_or_b32_e32 v2, s29, v7
	v_cmp_ne_u64_e32 vcc, 0, v[1:2]
	s_and_saveexec_b64 s[0:1], vcc
	s_xor_b64 s[30:31], exec, s[0:1]
	s_cbranch_execz .LBB0_4
; %bb.3:                                ;   in Loop: Header=BB0_2 Depth=1
	v_cvt_f32_u32_e32 v2, s28
	v_cvt_f32_u32_e32 v3, s29
	s_sub_u32 s0, 0, s28
	s_subb_u32 s1, 0, s29
	v_mac_f32_e32 v2, 0x4f800000, v3
	v_rcp_f32_e32 v2, v2
	v_mul_f32_e32 v2, 0x5f7ffffc, v2
	v_mul_f32_e32 v3, 0x2f800000, v2
	v_trunc_f32_e32 v3, v3
	v_mac_f32_e32 v2, 0xcf800000, v3
	v_cvt_u32_f32_e32 v3, v3
	v_cvt_u32_f32_e32 v2, v2
	v_mul_lo_u32 v8, s0, v3
	v_mul_hi_u32 v9, s0, v2
	v_mul_lo_u32 v11, s1, v2
	v_mul_lo_u32 v10, s0, v2
	v_add_u32_e32 v8, v9, v8
	v_add_u32_e32 v8, v8, v11
	v_mul_hi_u32 v9, v2, v10
	v_mul_lo_u32 v11, v2, v8
	v_mul_hi_u32 v13, v2, v8
	v_mul_hi_u32 v12, v3, v10
	v_mul_lo_u32 v10, v3, v10
	v_mul_hi_u32 v14, v3, v8
	v_add_co_u32_e32 v9, vcc, v9, v11
	v_addc_co_u32_e32 v11, vcc, 0, v13, vcc
	v_mul_lo_u32 v8, v3, v8
	v_add_co_u32_e32 v9, vcc, v9, v10
	v_addc_co_u32_e32 v9, vcc, v11, v12, vcc
	v_addc_co_u32_e32 v10, vcc, 0, v14, vcc
	v_add_co_u32_e32 v8, vcc, v9, v8
	v_addc_co_u32_e32 v9, vcc, 0, v10, vcc
	v_add_co_u32_e32 v2, vcc, v2, v8
	v_addc_co_u32_e32 v3, vcc, v3, v9, vcc
	v_mul_lo_u32 v8, s0, v3
	v_mul_hi_u32 v9, s0, v2
	v_mul_lo_u32 v10, s1, v2
	v_mul_lo_u32 v11, s0, v2
	v_add_u32_e32 v8, v9, v8
	v_add_u32_e32 v8, v8, v10
	v_mul_lo_u32 v12, v2, v8
	v_mul_hi_u32 v13, v2, v11
	v_mul_hi_u32 v14, v2, v8
	;; [unrolled: 1-line block ×3, first 2 shown]
	v_mul_lo_u32 v11, v3, v11
	v_mul_hi_u32 v9, v3, v8
	v_add_co_u32_e32 v12, vcc, v13, v12
	v_addc_co_u32_e32 v13, vcc, 0, v14, vcc
	v_mul_lo_u32 v8, v3, v8
	v_add_co_u32_e32 v11, vcc, v12, v11
	v_addc_co_u32_e32 v10, vcc, v13, v10, vcc
	v_addc_co_u32_e32 v9, vcc, 0, v9, vcc
	v_add_co_u32_e32 v8, vcc, v10, v8
	v_addc_co_u32_e32 v9, vcc, 0, v9, vcc
	v_add_co_u32_e32 v8, vcc, v2, v8
	v_addc_co_u32_e32 v9, vcc, v3, v9, vcc
	v_mad_u64_u32 v[2:3], s[0:1], v6, v9, 0
	v_mul_hi_u32 v10, v6, v8
	v_add_co_u32_e32 v10, vcc, v10, v2
	v_addc_co_u32_e32 v11, vcc, 0, v3, vcc
	v_mad_u64_u32 v[2:3], s[0:1], v7, v8, 0
	v_mad_u64_u32 v[8:9], s[0:1], v7, v9, 0
	v_add_co_u32_e32 v2, vcc, v10, v2
	v_addc_co_u32_e32 v2, vcc, v11, v3, vcc
	v_addc_co_u32_e32 v3, vcc, 0, v9, vcc
	v_add_co_u32_e32 v8, vcc, v2, v8
	v_addc_co_u32_e32 v9, vcc, 0, v3, vcc
	v_mul_lo_u32 v10, s29, v8
	v_mul_lo_u32 v11, s28, v9
	v_mad_u64_u32 v[2:3], s[0:1], s28, v8, 0
	v_add3_u32 v3, v3, v11, v10
	v_sub_u32_e32 v10, v7, v3
	v_mov_b32_e32 v11, s29
	v_sub_co_u32_e32 v2, vcc, v6, v2
	v_subb_co_u32_e64 v10, s[0:1], v10, v11, vcc
	v_subrev_co_u32_e64 v11, s[0:1], s28, v2
	v_subbrev_co_u32_e64 v10, s[0:1], 0, v10, s[0:1]
	v_cmp_le_u32_e64 s[0:1], s29, v10
	v_cndmask_b32_e64 v12, 0, -1, s[0:1]
	v_cmp_le_u32_e64 s[0:1], s28, v11
	v_cndmask_b32_e64 v11, 0, -1, s[0:1]
	v_cmp_eq_u32_e64 s[0:1], s29, v10
	v_cndmask_b32_e64 v10, v12, v11, s[0:1]
	v_add_co_u32_e64 v11, s[0:1], 2, v8
	v_addc_co_u32_e64 v12, s[0:1], 0, v9, s[0:1]
	v_add_co_u32_e64 v13, s[0:1], 1, v8
	v_addc_co_u32_e64 v14, s[0:1], 0, v9, s[0:1]
	v_subb_co_u32_e32 v3, vcc, v7, v3, vcc
	v_cmp_ne_u32_e64 s[0:1], 0, v10
	v_cmp_le_u32_e32 vcc, s29, v3
	v_cndmask_b32_e64 v10, v14, v12, s[0:1]
	v_cndmask_b32_e64 v12, 0, -1, vcc
	v_cmp_le_u32_e32 vcc, s28, v2
	v_cndmask_b32_e64 v2, 0, -1, vcc
	v_cmp_eq_u32_e32 vcc, s29, v3
	v_cndmask_b32_e32 v2, v12, v2, vcc
	v_cmp_ne_u32_e32 vcc, 0, v2
	v_cndmask_b32_e64 v2, v13, v11, s[0:1]
	v_cndmask_b32_e32 v85, v9, v10, vcc
	v_cndmask_b32_e32 v84, v8, v2, vcc
.LBB0_4:                                ;   in Loop: Header=BB0_2 Depth=1
	s_andn2_saveexec_b64 s[0:1], s[30:31]
	s_cbranch_execz .LBB0_6
; %bb.5:                                ;   in Loop: Header=BB0_2 Depth=1
	v_cvt_f32_u32_e32 v2, s28
	s_sub_i32 s30, 0, s28
	v_mov_b32_e32 v85, v1
	v_rcp_iflag_f32_e32 v2, v2
	v_mul_f32_e32 v2, 0x4f7ffffe, v2
	v_cvt_u32_f32_e32 v2, v2
	v_mul_lo_u32 v3, s30, v2
	v_mul_hi_u32 v3, v2, v3
	v_add_u32_e32 v2, v2, v3
	v_mul_hi_u32 v2, v6, v2
	v_mul_lo_u32 v3, v2, s28
	v_add_u32_e32 v8, 1, v2
	v_sub_u32_e32 v3, v6, v3
	v_subrev_u32_e32 v9, s28, v3
	v_cmp_le_u32_e32 vcc, s28, v3
	v_cndmask_b32_e32 v3, v3, v9, vcc
	v_cndmask_b32_e32 v2, v2, v8, vcc
	v_add_u32_e32 v8, 1, v2
	v_cmp_le_u32_e32 vcc, s28, v3
	v_cndmask_b32_e32 v84, v2, v8, vcc
.LBB0_6:                                ;   in Loop: Header=BB0_2 Depth=1
	s_or_b64 exec, exec, s[0:1]
	v_mul_lo_u32 v8, v85, s28
	v_mul_lo_u32 v9, v84, s29
	v_mad_u64_u32 v[2:3], s[0:1], v84, s28, 0
	s_load_dwordx2 s[0:1], s[22:23], 0x0
	s_load_dwordx2 s[28:29], s[6:7], 0x0
	v_add3_u32 v3, v3, v9, v8
	v_sub_co_u32_e32 v2, vcc, v6, v2
	v_subb_co_u32_e32 v3, vcc, v7, v3, vcc
	s_waitcnt lgkmcnt(0)
	v_mul_lo_u32 v6, s0, v3
	v_mul_lo_u32 v7, s1, v2
	v_mad_u64_u32 v[4:5], s[0:1], s0, v2, v[4:5]
	v_mul_lo_u32 v3, s28, v3
	v_mul_lo_u32 v8, s29, v2
	v_mad_u64_u32 v[82:83], s[0:1], s28, v2, v[82:83]
	s_add_u32 s26, s26, 1
	s_addc_u32 s27, s27, 0
	s_add_u32 s6, s6, 8
	v_add3_u32 v83, v8, v83, v3
	s_addc_u32 s7, s7, 0
	v_mov_b32_e32 v2, s14
	s_add_u32 s22, s22, 8
	v_mov_b32_e32 v3, s15
	s_addc_u32 s23, s23, 0
	v_cmp_ge_u64_e32 vcc, s[26:27], v[2:3]
	s_add_u32 s24, s24, 8
	v_add3_u32 v5, v7, v5, v6
	s_addc_u32 s25, s25, 0
	s_cbranch_vccnz .LBB0_9
; %bb.7:                                ;   in Loop: Header=BB0_2 Depth=1
	v_mov_b32_e32 v6, v84
	v_mov_b32_e32 v7, v85
	s_branch .LBB0_2
.LBB0_8:
	v_mov_b32_e32 v83, v5
	v_mov_b32_e32 v85, v7
	;; [unrolled: 1-line block ×4, first 2 shown]
.LBB0_9:
	s_load_dwordx2 s[0:1], s[4:5], 0x28
	s_lshl_b64 s[14:15], s[14:15], 3
	s_add_u32 s4, s18, s14
	s_addc_u32 s5, s19, s15
	v_and_b32_e32 v80, 15, v0
	s_waitcnt lgkmcnt(0)
	v_cmp_gt_u64_e32 vcc, s[0:1], v[84:85]
	v_cmp_le_u64_e64 s[0:1], s[0:1], v[84:85]
                                        ; implicit-def: $vgpr89
                                        ; implicit-def: $vgpr94
                                        ; implicit-def: $vgpr90
                                        ; implicit-def: $vgpr86
                                        ; implicit-def: $vgpr95
                                        ; implicit-def: $vgpr93
                                        ; implicit-def: $vgpr91
                                        ; implicit-def: $vgpr87
                                        ; implicit-def: $vgpr96
	s_and_saveexec_b64 s[6:7], s[0:1]
	s_xor_b64 s[0:1], exec, s[6:7]
; %bb.10:
	v_and_b32_e32 v80, 15, v0
	v_or_b32_e32 v89, 16, v80
	v_or_b32_e32 v94, 0x50, v80
	;; [unrolled: 1-line block ×9, first 2 shown]
                                        ; implicit-def: $vgpr4_vgpr5
; %bb.11:
	s_or_saveexec_b64 s[6:7], s[0:1]
                                        ; implicit-def: $vgpr58_vgpr59
                                        ; implicit-def: $vgpr74_vgpr75
                                        ; implicit-def: $vgpr50_vgpr51
                                        ; implicit-def: $vgpr66_vgpr67
                                        ; implicit-def: $vgpr42_vgpr43
                                        ; implicit-def: $vgpr38_vgpr39
                                        ; implicit-def: $vgpr10_vgpr11
                                        ; implicit-def: $vgpr26_vgpr27
                                        ; implicit-def: $vgpr6_vgpr7
                                        ; implicit-def: $vgpr22_vgpr23
                                        ; implicit-def: $vgpr2_vgpr3
                                        ; implicit-def: $vgpr30_vgpr31
                                        ; implicit-def: $vgpr14_vgpr15
                                        ; implicit-def: $vgpr34_vgpr35
                                        ; implicit-def: $vgpr18_vgpr19
                                        ; implicit-def: $vgpr62_vgpr63
                                        ; implicit-def: $vgpr46_vgpr47
                                        ; implicit-def: $vgpr70_vgpr71
                                        ; implicit-def: $vgpr54_vgpr55
                                        ; implicit-def: $vgpr78_vgpr79
	s_xor_b64 exec, exec, s[6:7]
	s_cbranch_execz .LBB0_13
; %bb.12:
	s_add_u32 s0, s16, s14
	s_addc_u32 s1, s17, s15
	s_load_dwordx2 s[0:1], s[0:1], 0x0
	v_mad_u64_u32 v[0:1], s[14:15], s20, v80, 0
	v_or_b32_e32 v86, 32, v80
	v_or_b32_e32 v87, 64, v80
	s_waitcnt lgkmcnt(0)
	v_mul_lo_u32 v8, s1, v84
	v_mul_lo_u32 v9, s0, v85
	v_mad_u64_u32 v[2:3], s[0:1], s0, v84, 0
	v_or_b32_e32 v90, 0x60, v80
	v_or_b32_e32 v91, 0x80, v80
	v_mad_u64_u32 v[6:7], s[0:1], s21, v80, v[1:2]
	v_add3_u32 v3, v3, v9, v8
	v_lshlrev_b64 v[2:3], 4, v[2:3]
	v_mov_b32_e32 v1, v6
	v_mov_b32_e32 v6, s9
	v_add_co_u32_e64 v7, s[0:1], s8, v2
	v_addc_co_u32_e64 v6, s[0:1], v6, v3, s[0:1]
	v_lshlrev_b64 v[2:3], 4, v[4:5]
	v_mad_u64_u32 v[4:5], s[0:1], s20, v86, 0
	v_add_co_u32_e64 v16, s[0:1], v7, v2
	v_mov_b32_e32 v2, v5
	v_addc_co_u32_e64 v17, s[0:1], v6, v3, s[0:1]
	v_mad_u64_u32 v[2:3], s[0:1], s21, v86, v[2:3]
	v_mad_u64_u32 v[6:7], s[0:1], s20, v87, 0
	v_lshlrev_b64 v[0:1], 4, v[0:1]
	v_mov_b32_e32 v5, v2
	v_add_co_u32_e64 v0, s[0:1], v16, v0
	v_lshlrev_b64 v[2:3], 4, v[4:5]
	v_mov_b32_e32 v4, v7
	v_addc_co_u32_e64 v1, s[0:1], v17, v1, s[0:1]
	v_mad_u64_u32 v[4:5], s[0:1], s21, v87, v[4:5]
	v_mad_u64_u32 v[8:9], s[0:1], s20, v90, 0
	v_mov_b32_e32 v7, v4
	v_add_co_u32_e64 v2, s[0:1], v16, v2
	v_lshlrev_b64 v[4:5], 4, v[6:7]
	v_mov_b32_e32 v6, v9
	v_addc_co_u32_e64 v3, s[0:1], v17, v3, s[0:1]
	v_mad_u64_u32 v[6:7], s[0:1], s21, v90, v[6:7]
	v_mad_u64_u32 v[10:11], s[0:1], s20, v91, 0
	v_mov_b32_e32 v9, v6
	v_add_co_u32_e64 v4, s[0:1], v16, v4
	v_lshlrev_b64 v[6:7], 4, v[8:9]
	v_mov_b32_e32 v8, v11
	v_addc_co_u32_e64 v5, s[0:1], v17, v5, s[0:1]
	v_mad_u64_u32 v[8:9], s[0:1], s21, v91, v[8:9]
	v_or_b32_e32 v14, 0xa0, v80
	v_mad_u64_u32 v[12:13], s[0:1], s20, v14, 0
	v_mov_b32_e32 v11, v8
	v_add_co_u32_e64 v6, s[0:1], v16, v6
	v_lshlrev_b64 v[8:9], 4, v[10:11]
	v_mov_b32_e32 v10, v13
	v_addc_co_u32_e64 v7, s[0:1], v17, v7, s[0:1]
	v_mad_u64_u32 v[10:11], s[0:1], s21, v14, v[10:11]
	v_or_b32_e32 v11, 0xc0, v80
	v_mad_u64_u32 v[14:15], s[0:1], s20, v11, 0
	v_add_co_u32_e64 v20, s[0:1], v16, v8
	v_mov_b32_e32 v13, v10
	v_mov_b32_e32 v10, v15
	v_addc_co_u32_e64 v21, s[0:1], v17, v9, s[0:1]
	v_lshlrev_b64 v[8:9], 4, v[12:13]
	v_mad_u64_u32 v[10:11], s[0:1], s21, v11, v[10:11]
	v_or_b32_e32 v13, 0xe0, v80
	v_mad_u64_u32 v[11:12], s[0:1], s20, v13, 0
	v_add_co_u32_e64 v22, s[0:1], v16, v8
	v_mov_b32_e32 v15, v10
	v_mov_b32_e32 v10, v12
	v_addc_co_u32_e64 v23, s[0:1], v17, v9, s[0:1]
	v_lshlrev_b64 v[8:9], 4, v[14:15]
	v_mad_u64_u32 v[12:13], s[0:1], s21, v13, v[10:11]
	v_or_b32_e32 v15, 0x100, v80
	v_mad_u64_u32 v[13:14], s[0:1], s20, v15, 0
	v_add_co_u32_e64 v28, s[0:1], v16, v8
	v_mov_b32_e32 v10, v14
	v_addc_co_u32_e64 v29, s[0:1], v17, v9, s[0:1]
	v_lshlrev_b64 v[8:9], 4, v[11:12]
	v_mad_u64_u32 v[10:11], s[0:1], s21, v15, v[10:11]
	v_or_b32_e32 v15, 0x120, v80
	v_mad_u64_u32 v[11:12], s[0:1], s20, v15, 0
	v_add_co_u32_e64 v30, s[0:1], v16, v8
	v_mov_b32_e32 v14, v10
	v_mov_b32_e32 v10, v12
	v_addc_co_u32_e64 v31, s[0:1], v17, v9, s[0:1]
	v_lshlrev_b64 v[8:9], 4, v[13:14]
	v_mad_u64_u32 v[12:13], s[0:1], s21, v15, v[10:11]
	v_or_b32_e32 v89, 16, v80
	v_mad_u64_u32 v[13:14], s[0:1], s20, v89, 0
	v_add_co_u32_e64 v97, s[0:1], v16, v8
	;; [unrolled: 15-line block ×6, first 2 shown]
	v_mov_b32_e32 v10, v14
	v_addc_co_u32_e64 v114, s[0:1], v17, v9, s[0:1]
	v_lshlrev_b64 v[8:9], 4, v[11:12]
	v_mad_u64_u32 v[10:11], s[0:1], s21, v15, v[10:11]
	v_or_b32_e32 v15, 0x130, v80
	v_mad_u64_u32 v[11:12], s[0:1], s20, v15, 0
	v_add_co_u32_e64 v115, s[0:1], v16, v8
	v_mov_b32_e32 v14, v10
	v_mov_b32_e32 v10, v12
	v_addc_co_u32_e64 v116, s[0:1], v17, v9, s[0:1]
	v_lshlrev_b64 v[8:9], 4, v[13:14]
	v_mad_u64_u32 v[12:13], s[0:1], s21, v15, v[10:11]
	v_add_co_u32_e64 v117, s[0:1], v16, v8
	v_addc_co_u32_e64 v118, s[0:1], v17, v9, s[0:1]
	v_lshlrev_b64 v[8:9], 4, v[11:12]
	v_add_co_u32_e64 v119, s[0:1], v16, v8
	v_addc_co_u32_e64 v120, s[0:1], v17, v9, s[0:1]
	global_load_dwordx4 v[76:79], v[0:1], off
	global_load_dwordx4 v[56:59], v[2:3], off
	;; [unrolled: 1-line block ×15, first 2 shown]
                                        ; kill: killed $vgpr2 killed $vgpr3
                                        ; kill: killed $vgpr20 killed $vgpr21
                                        ; kill: killed $vgpr103 killed $vgpr104
                                        ; kill: killed $vgpr22 killed $vgpr23
                                        ; kill: killed $vgpr109 killed $vgpr110
                                        ; kill: killed $vgpr0 killed $vgpr1
                                        ; kill: killed $vgpr28 killed $vgpr29
                                        ; kill: killed $vgpr6 killed $vgpr7
                                        ; kill: killed $vgpr101 killed $vgpr102
                                        ; kill: killed $vgpr30 killed $vgpr31
                                        ; kill: killed $vgpr107 killed $vgpr108
                                        ; kill: killed $vgpr97 killed $vgpr98
                                        ; kill: killed $vgpr4 killed $vgpr5
                                        ; kill: killed $vgpr99 killed $vgpr100
                                        ; kill: killed $vgpr105 killed $vgpr106
	global_load_dwordx4 v[12:15], v[111:112], off
	global_load_dwordx4 v[28:31], v[113:114], off
	;; [unrolled: 1-line block ×5, first 2 shown]
.LBB0_13:
	s_or_b64 exec, exec, s[6:7]
	s_waitcnt vmcnt(13)
	v_add_f64 v[97:98], v[64:65], v[68:69]
	s_waitcnt vmcnt(11)
	v_add_f64 v[99:100], v[74:75], -v[62:63]
	v_add_f64 v[101:102], v[72:73], v[60:61]
	s_mov_b32 s0, 0x134454ff
	s_mov_b32 s1, 0x3fee6f0e
	;; [unrolled: 1-line block ×4, first 2 shown]
	v_add_f64 v[103:104], v[70:71], -v[66:67]
	v_fma_f64 v[97:98], v[97:98], -0.5, v[76:77]
	v_add_f64 v[105:106], v[72:73], -v[68:69]
	v_add_f64 v[107:108], v[60:61], -v[64:65]
	v_fma_f64 v[101:102], v[101:102], -0.5, v[76:77]
	s_mov_b32 s6, 0x4755a5e
	s_mov_b32 s7, 0x3fe2cf23
	s_mov_b32 s15, 0xbfe2cf23
	s_mov_b32 s14, s6
	v_fma_f64 v[109:110], v[99:100], s[0:1], v[97:98]
	v_fma_f64 v[97:98], v[99:100], s[8:9], v[97:98]
	v_add_f64 v[111:112], v[68:69], -v[72:73]
	v_add_f64 v[105:106], v[107:108], v[105:106]
	v_fma_f64 v[107:108], v[103:104], s[8:9], v[101:102]
	v_fma_f64 v[101:102], v[103:104], s[0:1], v[101:102]
	v_add_f64 v[76:77], v[72:73], v[76:77]
	v_add_f64 v[72:73], v[72:73], -v[60:61]
	v_fma_f64 v[109:110], v[103:104], s[6:7], v[109:110]
	v_fma_f64 v[97:98], v[103:104], s[14:15], v[97:98]
	v_add_f64 v[103:104], v[64:65], -v[60:61]
	s_mov_b32 s16, 0x372fe950
	v_fma_f64 v[107:108], v[99:100], s[6:7], v[107:108]
	v_fma_f64 v[99:100], v[99:100], s[14:15], v[101:102]
	v_add_f64 v[101:102], v[74:75], v[62:63]
	v_add_f64 v[76:77], v[68:69], v[76:77]
	s_mov_b32 s17, 0x3fd3c6ef
	v_fma_f64 v[109:110], v[105:106], s[16:17], v[109:110]
	v_add_f64 v[103:104], v[103:104], v[111:112]
	v_add_f64 v[111:112], v[66:67], v[70:71]
	v_fma_f64 v[105:106], v[105:106], s[16:17], v[97:98]
	v_add_f64 v[97:98], v[74:75], -v[70:71]
	v_fma_f64 v[101:102], v[101:102], -0.5, v[78:79]
	v_add_f64 v[76:77], v[64:65], v[76:77]
	v_add_f64 v[64:65], v[68:69], -v[64:65]
	v_add_f64 v[68:69], v[62:63], -v[66:67]
	v_fma_f64 v[99:100], v[103:104], s[16:17], v[99:100]
	v_fma_f64 v[111:112], v[111:112], -0.5, v[78:79]
	v_add_f64 v[78:79], v[74:75], v[78:79]
	v_add_f64 v[74:75], v[70:71], -v[74:75]
	s_mov_b32 s18, 0x9b97f4a8
	v_add_f64 v[60:61], v[60:61], v[76:77]
	s_mov_b32 s19, 0x3fe9e377
	v_add_f64 v[68:69], v[68:69], v[97:98]
	v_fma_f64 v[97:98], v[64:65], s[0:1], v[101:102]
	v_fma_f64 v[101:102], v[64:65], s[8:9], v[101:102]
	v_add_f64 v[70:71], v[70:71], v[78:79]
	v_fma_f64 v[78:79], v[103:104], s[16:17], v[107:108]
	v_fma_f64 v[103:104], v[72:73], s[8:9], v[111:112]
	;; [unrolled: 1-line block ×3, first 2 shown]
	v_add_f64 v[111:112], v[48:49], v[44:45]
	v_mul_u32_u24_e32 v81, 0x140, v81
	v_fma_f64 v[97:98], v[72:73], s[14:15], v[97:98]
	s_load_dwordx2 s[4:5], s[4:5], 0x0
	v_add_f64 v[70:71], v[66:67], v[70:71]
	v_add_f64 v[66:67], v[66:67], -v[62:63]
	v_fma_f64 v[76:77], v[64:65], s[14:15], v[103:104]
	v_fma_f64 v[64:65], v[64:65], s[6:7], v[107:108]
	v_fma_f64 v[103:104], v[111:112], -0.5, v[56:57]
	s_waitcnt vmcnt(10)
	v_add_f64 v[107:108], v[54:55], -v[42:43]
	v_add_f64 v[62:63], v[62:63], v[70:71]
	v_add_f64 v[66:67], v[66:67], v[74:75]
	v_fma_f64 v[76:77], v[68:69], s[16:17], v[76:77]
	v_fma_f64 v[70:71], v[72:73], s[6:7], v[101:102]
	v_add_f64 v[72:73], v[40:41], v[52:53]
	v_add_f64 v[74:75], v[52:53], -v[48:49]
	v_add_f64 v[101:102], v[40:41], -v[44:45]
	v_fma_f64 v[111:112], v[68:69], s[16:17], v[64:65]
	v_add_f64 v[64:65], v[50:51], v[46:47]
	v_add_f64 v[68:69], v[42:43], v[54:55]
	v_fma_f64 v[113:114], v[66:67], s[16:17], v[97:98]
	v_fma_f64 v[115:116], v[66:67], s[16:17], v[70:71]
	;; [unrolled: 1-line block ×3, first 2 shown]
	v_fma_f64 v[70:71], v[72:73], -0.5, v[56:57]
	v_add_f64 v[72:73], v[101:102], v[74:75]
	v_add_f64 v[56:57], v[56:57], v[52:53]
	v_fma_f64 v[64:65], v[64:65], -0.5, v[58:59]
	v_fma_f64 v[68:69], v[68:69], -0.5, v[58:59]
	v_add_f64 v[58:59], v[58:59], v[54:55]
	v_add_f64 v[74:75], v[50:51], -v[46:47]
	v_fma_f64 v[97:98], v[107:108], s[8:9], v[103:104]
	v_add_f64 v[103:104], v[54:55], -v[50:51]
	v_add_f64 v[54:55], v[50:51], -v[54:55]
	v_add_f64 v[56:57], v[48:49], v[56:57]
	v_add_f64 v[50:51], v[50:51], v[58:59]
	v_fma_f64 v[66:67], v[74:75], s[6:7], v[66:67]
	v_fma_f64 v[97:98], v[74:75], s[14:15], v[97:98]
	;; [unrolled: 1-line block ×4, first 2 shown]
	v_add_f64 v[74:75], v[48:49], -v[52:53]
	v_add_f64 v[52:53], v[52:53], -v[40:41]
	;; [unrolled: 1-line block ×4, first 2 shown]
	v_add_f64 v[44:45], v[44:45], v[56:57]
	v_add_f64 v[50:51], v[46:47], v[50:51]
	v_fma_f64 v[70:71], v[107:108], s[14:15], v[70:71]
	v_fma_f64 v[56:57], v[52:53], s[8:9], v[64:65]
	v_add_f64 v[58:59], v[58:59], v[74:75]
	v_fma_f64 v[74:75], v[107:108], s[6:7], v[101:102]
	v_add_f64 v[101:102], v[42:43], -v[46:47]
	v_add_f64 v[46:47], v[46:47], -v[42:43]
	v_fma_f64 v[64:65], v[52:53], s[0:1], v[64:65]
	v_add_f64 v[107:108], v[40:41], v[44:45]
	v_fma_f64 v[40:41], v[72:73], s[16:17], v[66:67]
	v_fma_f64 v[56:57], v[48:49], s[14:15], v[56:57]
	v_add_f64 v[101:102], v[101:102], v[103:104]
	v_fma_f64 v[103:104], v[48:49], s[0:1], v[68:69]
	;; [unrolled: 3-line block ×3, first 2 shown]
	v_fma_f64 v[64:65], v[58:59], s[16:17], v[74:75]
	v_fma_f64 v[58:59], v[58:59], s[16:17], v[70:71]
	;; [unrolled: 1-line block ×6, first 2 shown]
	v_add_f64 v[103:104], v[42:43], v[50:51]
	v_fma_f64 v[42:43], v[101:102], s[16:17], v[48:49]
	v_mul_f64 v[66:67], v[58:59], s[16:17]
	v_mul_f64 v[50:51], v[54:55], s[6:7]
	v_fma_f64 v[48:49], v[46:47], s[16:17], v[44:45]
	v_fma_f64 v[46:47], v[46:47], s[16:17], v[52:53]
	v_mul_f64 v[52:53], v[64:65], s[16:17]
	v_mul_f64 v[68:69], v[56:57], s[18:19]
	;; [unrolled: 1-line block ×3, first 2 shown]
	v_add_f64 v[44:45], v[107:108], v[60:61]
	v_fma_f64 v[50:51], v[40:41], s[18:19], v[50:51]
	v_mul_f64 v[40:41], v[40:41], s[14:15]
	v_mul_f64 v[70:71], v[46:47], s[16:17]
	v_fma_f64 v[52:53], v[48:49], s[0:1], v[52:53]
	v_fma_f64 v[97:98], v[46:47], s[0:1], -v[66:67]
	v_fma_f64 v[101:102], v[42:43], s[6:7], -v[68:69]
	v_mul_f64 v[66:67], v[42:43], s[18:19]
	v_fma_f64 v[119:120], v[48:49], s[16:17], v[64:65]
	v_add_f64 v[46:47], v[109:110], v[50:51]
	v_fma_f64 v[117:118], v[54:55], s[18:19], v[40:41]
	s_waitcnt vmcnt(3)
	v_add_f64 v[54:55], v[24:25], v[28:29]
	v_fma_f64 v[121:122], v[58:59], s[8:9], -v[70:71]
	v_add_f64 v[68:69], v[78:79], v[52:53]
	v_add_f64 v[70:71], v[99:100], v[97:98]
	;; [unrolled: 1-line block ×3, first 2 shown]
	v_add_f64 v[74:75], v[78:79], -v[52:53]
	s_waitcnt vmcnt(1)
	v_add_f64 v[58:59], v[20:21], v[32:33]
	v_add_f64 v[97:98], v[99:100], -v[97:98]
	v_add_f64 v[99:100], v[105:106], -v[101:102]
	v_fma_f64 v[78:79], v[54:55], -0.5, v[36:37]
	v_add_f64 v[101:102], v[34:35], -v[22:23]
	v_fma_f64 v[123:124], v[56:57], s[14:15], -v[66:67]
	v_add_f64 v[40:41], v[103:104], v[62:63]
	v_add_f64 v[42:43], v[76:77], v[117:118]
	v_add_f64 v[66:67], v[60:61], -v[107:108]
	v_add_f64 v[72:73], v[109:110], -v[50:51]
	;; [unrolled: 1-line block ×5, first 2 shown]
	v_fma_f64 v[103:104], v[58:59], -0.5, v[36:37]
	v_add_f64 v[105:106], v[32:33], -v[24:25]
	v_add_f64 v[107:108], v[20:21], -v[28:29]
	v_fma_f64 v[109:110], v[101:102], s[0:1], v[78:79]
	v_fma_f64 v[78:79], v[101:102], s[8:9], v[78:79]
	v_add_f64 v[52:53], v[111:112], v[123:124]
	v_add_f64 v[62:63], v[111:112], -v[123:124]
	v_add_f64 v[36:37], v[36:37], v[32:33]
	v_fma_f64 v[111:112], v[76:77], s[8:9], v[103:104]
	v_fma_f64 v[103:104], v[76:77], s[0:1], v[103:104]
	v_add_f64 v[105:106], v[107:108], v[105:106]
	v_add_f64 v[107:108], v[24:25], -v[32:33]
	v_fma_f64 v[109:110], v[76:77], s[6:7], v[109:110]
	v_fma_f64 v[76:77], v[76:77], s[14:15], v[78:79]
	v_add_f64 v[78:79], v[28:29], -v[20:21]
	v_add_f64 v[32:33], v[32:33], -v[20:21]
	v_fma_f64 v[111:112], v[101:102], s[6:7], v[111:112]
	v_fma_f64 v[101:102], v[101:102], s[14:15], v[103:104]
	v_add_f64 v[103:104], v[22:23], v[34:35]
	v_add_f64 v[36:37], v[24:25], v[36:37]
	v_fma_f64 v[109:110], v[105:106], s[16:17], v[109:110]
	v_fma_f64 v[76:77], v[105:106], s[16:17], v[76:77]
	v_add_f64 v[78:79], v[78:79], v[107:108]
	v_add_f64 v[107:108], v[26:27], v[30:31]
	v_add_f64 v[24:25], v[24:25], -v[28:29]
	v_add_f64 v[48:49], v[113:114], v[119:120]
	v_fma_f64 v[103:104], v[103:104], -0.5, v[38:39]
	v_add_f64 v[28:29], v[28:29], v[36:37]
	v_add_f64 v[58:59], v[113:114], -v[119:120]
	s_waitcnt vmcnt(0)
	v_add_f64 v[113:114], v[4:5], -v[0:1]
	v_fma_f64 v[105:106], v[78:79], s[16:17], v[111:112]
	v_fma_f64 v[107:108], v[107:108], -0.5, v[38:39]
	v_add_f64 v[38:39], v[38:39], v[34:35]
	v_fma_f64 v[78:79], v[78:79], s[16:17], v[101:102]
	v_add_f64 v[101:102], v[34:35], -v[26:27]
	v_add_f64 v[111:112], v[22:23], -v[30:31]
	;; [unrolled: 1-line block ×3, first 2 shown]
	v_add_f64 v[20:21], v[20:21], v[28:29]
	v_add_f64 v[28:29], v[14:15], -v[6:7]
	v_add_f64 v[50:51], v[115:116], v[121:122]
	v_add_f64 v[26:27], v[26:27], v[38:39]
	v_fma_f64 v[38:39], v[32:33], s[8:9], v[107:108]
	v_fma_f64 v[107:108], v[32:33], s[0:1], v[107:108]
	v_add_f64 v[101:102], v[111:112], v[101:102]
	v_add_f64 v[111:112], v[4:5], v[12:13]
	v_add_f64 v[60:61], v[115:116], -v[121:122]
	v_add_f64 v[26:27], v[30:31], v[26:27]
	v_fma_f64 v[38:39], v[24:25], s[14:15], v[38:39]
	v_fma_f64 v[107:108], v[24:25], s[6:7], v[107:108]
	v_add_f64 v[30:31], v[30:31], -v[22:23]
	v_fma_f64 v[36:37], v[111:112], -0.5, v[16:17]
	v_fma_f64 v[111:112], v[24:25], s[0:1], v[103:104]
	v_fma_f64 v[24:25], v[24:25], s[8:9], v[103:104]
	v_add_f64 v[103:104], v[10:11], -v[2:3]
	v_add_f64 v[26:27], v[22:23], v[26:27]
	v_fma_f64 v[38:39], v[101:102], s[16:17], v[38:39]
	v_fma_f64 v[101:102], v[101:102], s[16:17], v[107:108]
	v_add_f64 v[30:31], v[30:31], v[34:35]
	v_add_f64 v[34:35], v[8:9], -v[12:13]
	v_fma_f64 v[111:112], v[32:33], s[14:15], v[111:112]
	v_fma_f64 v[24:25], v[32:33], s[6:7], v[24:25]
	;; [unrolled: 1-line block ×3, first 2 shown]
	v_add_f64 v[32:33], v[0:1], -v[4:5]
	v_fma_f64 v[36:37], v[103:104], s[8:9], v[36:37]
	v_add_f64 v[107:108], v[8:9], v[0:1]
	v_fma_f64 v[22:23], v[28:29], s[6:7], v[22:23]
	v_add_f64 v[32:33], v[32:33], v[34:35]
	v_fma_f64 v[34:35], v[28:29], s[14:15], v[36:37]
	v_fma_f64 v[36:37], v[30:31], s[16:17], v[111:112]
	;; [unrolled: 1-line block ×3, first 2 shown]
	v_add_f64 v[24:25], v[6:7], v[14:15]
	v_add_f64 v[30:31], v[10:11], v[2:3]
	v_fma_f64 v[22:23], v[32:33], s[16:17], v[22:23]
	v_fma_f64 v[32:33], v[32:33], s[16:17], v[34:35]
	v_add_f64 v[34:35], v[8:9], v[16:17]
	v_fma_f64 v[16:17], v[107:108], -0.5, v[16:17]
	v_add_f64 v[107:108], v[12:13], -v[8:9]
	v_fma_f64 v[24:25], v[24:25], -0.5, v[18:19]
	v_fma_f64 v[30:31], v[30:31], -0.5, v[18:19]
	v_add_f64 v[18:19], v[10:11], v[18:19]
	v_add_f64 v[8:9], v[8:9], -v[0:1]
	v_add_f64 v[34:35], v[12:13], v[34:35]
	v_add_f64 v[12:13], v[12:13], -v[4:5]
	v_add_f64 v[107:108], v[113:114], v[107:108]
	v_fma_f64 v[113:114], v[28:29], s[8:9], v[16:17]
	v_fma_f64 v[16:17], v[28:29], s[0:1], v[16:17]
	v_add_f64 v[28:29], v[10:11], -v[14:15]
	v_add_f64 v[10:11], v[14:15], -v[10:11]
	v_add_f64 v[14:15], v[14:15], v[18:19]
	v_add_f64 v[4:5], v[4:5], v[34:35]
	v_fma_f64 v[34:35], v[8:9], s[8:9], v[24:25]
	v_fma_f64 v[24:25], v[8:9], s[0:1], v[24:25]
	;; [unrolled: 1-line block ×4, first 2 shown]
	v_add_f64 v[103:104], v[2:3], -v[6:7]
	v_add_f64 v[14:15], v[6:7], v[14:15]
	v_add_f64 v[6:7], v[6:7], -v[2:3]
	v_add_f64 v[113:114], v[0:1], v[4:5]
	v_fma_f64 v[0:1], v[12:13], s[14:15], v[34:35]
	v_fma_f64 v[4:5], v[12:13], s[6:7], v[24:25]
	v_fma_f64 v[16:17], v[107:108], s[16:17], v[16:17]
	v_add_f64 v[28:29], v[103:104], v[28:29]
	v_fma_f64 v[103:104], v[12:13], s[0:1], v[30:31]
	v_fma_f64 v[30:31], v[12:13], s[8:9], v[30:31]
	v_add_f64 v[6:7], v[6:7], v[10:11]
	v_fma_f64 v[10:11], v[107:108], s[16:17], v[18:19]
	v_add_f64 v[34:35], v[2:3], v[14:15]
	v_mul_f64 v[2:3], v[22:23], s[18:19]
	v_mul_f64 v[18:19], v[16:17], s[16:17]
	v_fma_f64 v[14:15], v[28:29], s[16:17], v[0:1]
	v_fma_f64 v[12:13], v[8:9], s[14:15], v[103:104]
	;; [unrolled: 1-line block ×4, first 2 shown]
	v_mul_f64 v[24:25], v[32:33], s[18:19]
	v_mul_f64 v[22:23], v[22:23], s[14:15]
	v_add_f64 v[0:1], v[20:21], v[113:114]
	v_fma_f64 v[28:29], v[14:15], s[6:7], v[2:3]
	v_fma_f64 v[12:13], v[6:7], s[16:17], v[12:13]
	;; [unrolled: 1-line block ×3, first 2 shown]
	v_mul_f64 v[8:9], v[10:11], s[16:17]
	v_mul_f64 v[10:11], v[10:11], s[8:9]
	v_fma_f64 v[115:116], v[4:5], s[6:7], -v[24:25]
	v_fma_f64 v[117:118], v[14:15], s[18:19], v[22:23]
	s_movk_i32 s6, 0x140
	v_add_f64 v[2:3], v[109:110], v[28:29]
	v_mul_f64 v[30:31], v[6:7], s[16:17]
	v_fma_f64 v[103:104], v[12:13], s[0:1], v[8:9]
	v_fma_f64 v[107:108], v[6:7], s[0:1], -v[18:19]
	v_mul_f64 v[8:9], v[4:5], s[18:19]
	v_fma_f64 v[119:120], v[12:13], s[16:17], v[10:11]
	v_add_f64 v[10:11], v[20:21], -v[113:114]
	v_add_f64 v[20:21], v[109:110], -v[28:29]
	v_add_f64 v[12:13], v[26:27], v[34:35]
	v_fma_f64 v[121:122], v[16:17], s[8:9], -v[30:31]
	v_add_f64 v[4:5], v[105:106], v[103:104]
	v_add_f64 v[6:7], v[78:79], v[107:108]
	v_fma_f64 v[123:124], v[32:33], s[14:15], -v[8:9]
	v_add_f64 v[8:9], v[76:77], v[115:116]
	v_add_f64 v[22:23], v[105:106], -v[103:104]
	v_add_f64 v[30:31], v[76:77], -v[115:116]
	v_lshlrev_b32_e32 v76, 3, v81
	v_add_f64 v[28:29], v[78:79], -v[107:108]
	v_mul_u32_u24_e32 v77, 10, v80
	v_add_u32_e32 v79, 0, v76
	v_lshl_add_u32 v81, v77, 3, v79
	ds_write_b128 v81, v[44:47]
	ds_write_b128 v81, v[68:71] offset:16
	ds_write_b128 v81, v[64:67] offset:32
	ds_write_b128 v81, v[72:75] offset:48
	ds_write_b128 v81, v[97:100] offset:64
	v_mul_i32_i24_e32 v44, 10, v89
	v_lshl_add_u32 v88, v44, 3, v79
	v_add_f64 v[14:15], v[38:39], v[117:118]
	ds_write_b128 v88, v[0:3]
	ds_write_b128 v88, v[4:7] offset:16
	ds_write_b128 v88, v[8:11] offset:32
	;; [unrolled: 1-line block ×4, first 2 shown]
	v_lshlrev_b32_e32 v0, 3, v80
	v_add_f64 v[16:17], v[36:37], v[119:120]
	v_add_f64 v[18:19], v[111:112], v[121:122]
	v_add3_u32 v64, 0, v0, v76
	s_movk_i32 s0, 0xffb8
	v_add_f64 v[24:25], v[101:102], v[123:124]
	v_add_f64 v[26:27], v[26:27], -v[34:35]
	v_add_u32_e32 v65, v79, v0
	v_mad_i32_i24 v67, v89, s0, v88
	v_add_u32_e32 v71, 0x800, v64
	v_lshl_add_u32 v69, v86, 3, v79
	v_lshl_add_u32 v74, v87, 3, v79
	v_add_u32_e32 v2, -10, v80
	v_cmp_gt_u32_e64 s[0:1], 10, v80
	v_add_f64 v[32:33], v[38:39], -v[117:118]
	v_add_f64 v[34:35], v[36:37], -v[119:120]
	;; [unrolled: 1-line block ×4, first 2 shown]
	s_waitcnt lgkmcnt(0)
	; wave barrier
	s_waitcnt lgkmcnt(0)
	v_lshl_add_u32 v66, v94, 3, v79
	ds_read2_b64 v[20:23], v64 offset0:160 offset1:176
	ds_read2_b64 v[97:100], v64 offset0:224 offset1:240
	v_lshl_add_u32 v68, v90, 3, v79
	ds_read_b64 v[44:45], v65
	ds_read_b64 v[77:78], v66
	;; [unrolled: 1-line block ×4, first 2 shown]
	ds_read2_b64 v[101:104], v71 offset1:16
	v_lshl_add_u32 v70, v95, 3, v79
	ds_read2_b64 v[105:108], v64 offset0:192 offset1:208
	v_lshl_add_u32 v72, v93, 3, v79
	v_lshl_add_u32 v73, v91, 3, v79
	ds_read_b64 v[5:6], v69
	ds_read_b64 v[115:116], v70
	;; [unrolled: 1-line block ×4, first 2 shown]
	ds_read2_b64 v[109:112], v71 offset0:32 offset1:48
	v_lshl_add_u32 v75, v96, 3, v79
	ds_read_b64 v[7:8], v74
	ds_read_b64 v[46:47], v75
	s_waitcnt lgkmcnt(0)
	; wave barrier
	s_waitcnt lgkmcnt(0)
	ds_write_b128 v81, v[40:43]
	ds_write_b128 v81, v[48:51] offset:16
	ds_write_b128 v81, v[52:55] offset:32
	;; [unrolled: 1-line block ×4, first 2 shown]
	ds_write_b128 v88, v[12:15]
	ds_write_b128 v88, v[16:19] offset:16
	ds_write_b128 v88, v[24:27] offset:32
	;; [unrolled: 1-line block ×4, first 2 shown]
	v_cndmask_b32_e64 v63, v2, v80, s[0:1]
	v_mul_i32_i24_e32 v3, 3, v63
	v_mov_b32_e32 v4, 0
	v_lshlrev_b64 v[2:3], 4, v[3:4]
	v_mov_b32_e32 v43, s13
	v_add_co_u32_e64 v61, s[0:1], s12, v2
	v_addc_co_u32_e64 v62, s[0:1], v43, v3, s[0:1]
	s_waitcnt lgkmcnt(0)
	; wave barrier
	s_waitcnt lgkmcnt(0)
	global_load_dwordx4 v[11:14], v[61:62], off offset:16
	s_movk_i32 s0, 0xcd
	v_mul_lo_u16_sdwa v2, v89, s0 dst_sel:DWORD dst_unused:UNUSED_PAD src0_sel:BYTE_0 src1_sel:DWORD
	v_lshrrev_b16_e32 v55, 11, v2
	v_mul_lo_u16_e32 v2, 10, v55
	v_sub_u16_e32 v56, v89, v2
	v_mov_b32_e32 v48, 3
	v_mul_u32_u24_sdwa v2, v56, v48 dst_sel:DWORD dst_unused:UNUSED_PAD src0_sel:BYTE_0 src1_sel:DWORD
	v_lshlrev_b32_e32 v79, 4, v2
	global_load_dwordx4 v[15:18], v79, s[12:13] offset:16
	global_load_dwordx4 v[27:30], v79, s[12:13] offset:32
	v_mul_lo_u16_sdwa v2, v86, s0 dst_sel:DWORD dst_unused:UNUSED_PAD src0_sel:BYTE_0 src1_sel:DWORD
	v_lshrrev_b16_e32 v49, 11, v2
	v_mul_lo_u16_e32 v2, 10, v49
	v_sub_u16_e32 v50, v86, v2
	v_mul_u32_u24_sdwa v2, v50, v48 dst_sel:DWORD dst_unused:UNUSED_PAD src0_sel:BYTE_0 src1_sel:DWORD
	v_lshlrev_b32_e32 v81, 4, v2
	global_load_dwordx4 v[33:36], v81, s[12:13] offset:32
	global_load_dwordx4 v[57:60], v81, s[12:13] offset:16
	ds_read2_b64 v[37:40], v64 offset0:160 offset1:176
	v_lshlrev_b32_e32 v63, 3, v63
	s_waitcnt vmcnt(4) lgkmcnt(0)
	v_mul_f64 v[2:3], v[37:38], v[13:14]
	v_mul_f64 v[13:14], v[20:21], v[13:14]
	s_waitcnt vmcnt(3)
	v_mul_f64 v[24:25], v[39:40], v[17:18]
	v_mul_f64 v[31:32], v[22:23], v[17:18]
	v_fma_f64 v[119:120], v[20:21], v[11:12], -v[2:3]
	s_waitcnt vmcnt(2)
	v_mul_f64 v[19:20], v[101:102], v[29:30]
	v_mul_lo_u16_sdwa v21, v93, s0 dst_sel:DWORD dst_unused:UNUSED_PAD src0_sel:BYTE_0 src1_sel:DWORD
	v_fma_f64 v[17:18], v[37:38], v[11:12], v[13:14]
	ds_read2_b64 v[11:14], v71 offset1:16
	v_lshrrev_b16_e32 v51, 11, v21
	v_mul_lo_u16_e32 v21, 10, v51
	v_sub_u16_e32 v52, v93, v21
	v_mul_u32_u24_sdwa v21, v52, v48 dst_sel:DWORD dst_unused:UNUSED_PAD src0_sel:BYTE_0 src1_sel:DWORD
	v_lshlrev_b32_e32 v88, 4, v21
	v_fma_f64 v[25:26], v[22:23], v[15:16], -v[24:25]
	v_fma_f64 v[2:3], v[39:40], v[15:16], v[31:32]
	s_waitcnt lgkmcnt(0)
	v_mul_f64 v[15:16], v[11:12], v[29:30]
	global_load_dwordx4 v[37:40], v88, s[12:13] offset:16
	v_fma_f64 v[29:30], v[11:12], v[27:28], v[19:20]
	s_waitcnt vmcnt(2)
	v_mul_f64 v[11:12], v[13:14], v[35:36]
	v_add_f64 v[25:26], v[9:10], -v[25:26]
	v_fma_f64 v[31:32], v[101:102], v[27:28], -v[15:16]
	s_waitcnt vmcnt(1)
	v_mul_f64 v[27:28], v[105:106], v[59:60]
	v_fma_f64 v[21:22], v[103:104], v[33:34], -v[11:12]
	v_mul_f64 v[11:12], v[103:104], v[35:36]
	global_load_dwordx4 v[101:104], v[61:62], off offset:32
	v_fma_f64 v[9:10], v[9:10], 2.0, -v[25:26]
	v_fma_f64 v[19:20], v[13:14], v[33:34], v[11:12]
	ds_read2_b64 v[11:14], v64 offset0:192 offset1:208
	s_waitcnt lgkmcnt(0)
	v_mul_f64 v[15:16], v[11:12], v[59:60]
	v_fma_f64 v[11:12], v[11:12], v[57:58], v[27:28]
	v_fma_f64 v[23:24], v[105:106], v[57:58], -v[15:16]
	ds_read2_b64 v[57:60], v71 offset0:32 offset1:48
	ds_read_b64 v[105:106], v70
	v_add_f64 v[23:24], v[5:6], -v[23:24]
	v_fma_f64 v[5:6], v[5:6], 2.0, -v[23:24]
	s_waitcnt vmcnt(1)
	v_mul_f64 v[15:16], v[13:14], v[39:40]
	v_mul_f64 v[33:34], v[107:108], v[39:40]
	ds_read2_b64 v[39:42], v64 offset0:224 offset1:240
	v_fma_f64 v[27:28], v[107:108], v[37:38], -v[15:16]
	v_fma_f64 v[13:14], v[13:14], v[37:38], v[33:34]
	s_waitcnt vmcnt(0) lgkmcnt(0)
	v_mul_f64 v[15:16], v[41:42], v[103:104]
	v_mul_f64 v[33:34], v[99:100], v[103:104]
	v_fma_f64 v[103:104], v[99:100], v[101:102], -v[15:16]
	v_mul_lo_u16_sdwa v15, v87, s0 dst_sel:DWORD dst_unused:UNUSED_PAD src0_sel:BYTE_0 src1_sel:DWORD
	v_lshrrev_b16_e32 v53, 11, v15
	v_mul_lo_u16_e32 v15, 10, v53
	v_sub_u16_e32 v54, v87, v15
	v_mul_u32_u24_sdwa v15, v54, v48 dst_sel:DWORD dst_unused:UNUSED_PAD src0_sel:BYTE_0 src1_sel:DWORD
	v_lshlrev_b32_e32 v92, 4, v15
	global_load_dwordx4 v[35:38], v92, s[12:13] offset:16
	v_fma_f64 v[101:102], v[41:42], v[101:102], v[33:34]
	v_cmp_lt_u32_e64 s[0:1], 9, v80
	s_waitcnt vmcnt(0)
	v_mul_f64 v[15:16], v[39:40], v[37:38]
	v_fma_f64 v[33:34], v[97:98], v[35:36], -v[15:16]
	v_mul_f64 v[15:16], v[97:98], v[37:38]
	global_load_dwordx4 v[97:100], v92, s[12:13] offset:32
	v_fma_f64 v[15:16], v[39:40], v[35:36], v[15:16]
	global_load_dwordx4 v[35:38], v88, s[12:13] offset:32
	s_waitcnt vmcnt(0)
	v_mul_f64 v[39:40], v[57:58], v[37:38]
	v_mul_f64 v[37:38], v[109:110], v[37:38]
	v_fma_f64 v[39:40], v[109:110], v[35:36], -v[39:40]
	v_fma_f64 v[35:36], v[57:58], v[35:36], v[37:38]
	v_mul_f64 v[37:38], v[59:60], v[99:100]
	ds_read_b64 v[109:110], v73
	v_fma_f64 v[41:42], v[111:112], v[97:98], -v[37:38]
	v_mul_f64 v[37:38], v[111:112], v[99:100]
	v_fma_f64 v[37:38], v[59:60], v[97:98], v[37:38]
	global_load_dwordx4 v[57:60], v[61:62], off
	ds_read_b64 v[61:62], v66
	s_waitcnt vmcnt(0) lgkmcnt(0)
	v_mul_f64 v[97:98], v[61:62], v[59:60]
	v_mul_f64 v[59:60], v[77:78], v[59:60]
	v_fma_f64 v[97:98], v[77:78], v[57:58], -v[97:98]
	v_fma_f64 v[61:62], v[61:62], v[57:58], v[59:60]
	global_load_dwordx4 v[57:60], v79, s[12:13]
	ds_read_b64 v[77:78], v68
	v_mov_b32_e32 v79, 0x140
	v_cndmask_b32_e64 v79, 0, v79, s[0:1]
	v_add_u32_e32 v79, 0, v79
	v_add3_u32 v63, v79, v63, v76
	v_add_f64 v[101:102], v[61:62], -v[101:102]
	s_waitcnt vmcnt(0) lgkmcnt(0)
	v_mul_f64 v[99:100], v[77:78], v[59:60]
	v_mul_f64 v[59:60], v[113:114], v[59:60]
	v_fma_f64 v[99:100], v[113:114], v[57:58], -v[99:100]
	v_fma_f64 v[77:78], v[77:78], v[57:58], v[59:60]
	global_load_dwordx4 v[57:60], v81, s[12:13]
	ds_read_b64 v[113:114], v75
	s_waitcnt vmcnt(0)
	v_mul_f64 v[107:108], v[105:106], v[59:60]
	v_mul_f64 v[59:60], v[115:116], v[59:60]
	v_fma_f64 v[107:108], v[115:116], v[57:58], -v[107:108]
	v_fma_f64 v[105:106], v[105:106], v[57:58], v[59:60]
	global_load_dwordx4 v[57:60], v88, s[12:13]
	s_waitcnt vmcnt(0)
	v_mul_f64 v[111:112], v[109:110], v[59:60]
	v_mul_f64 v[59:60], v[117:118], v[59:60]
	v_fma_f64 v[111:112], v[117:118], v[57:58], -v[111:112]
	v_fma_f64 v[109:110], v[109:110], v[57:58], v[59:60]
	global_load_dwordx4 v[57:60], v92, s[12:13]
	s_waitcnt vmcnt(0) lgkmcnt(0)
	v_mul_f64 v[115:116], v[113:114], v[59:60]
	v_fma_f64 v[115:116], v[46:47], v[57:58], -v[115:116]
	v_mul_f64 v[46:47], v[46:47], v[59:60]
	v_add_f64 v[59:60], v[97:98], -v[103:104]
	v_add_f64 v[41:42], v[115:116], -v[41:42]
	v_fma_f64 v[57:58], v[113:114], v[57:58], v[46:47]
	v_add_f64 v[46:47], v[44:45], -v[119:120]
	v_fma_f64 v[97:98], v[97:98], 2.0, -v[59:60]
	ds_read_b64 v[113:114], v67
	ds_read_b64 v[117:118], v72
	ds_read_b64 v[119:120], v65
	ds_read_b64 v[121:122], v69
	ds_read_b64 v[123:124], v74
	s_waitcnt lgkmcnt(0)
	; wave barrier
	s_waitcnt lgkmcnt(0)
	v_add_f64 v[2:3], v[113:114], -v[2:3]
	v_add_f64 v[11:12], v[121:122], -v[11:12]
	;; [unrolled: 1-line block ×3, first 2 shown]
	v_fma_f64 v[44:45], v[44:45], 2.0, -v[46:47]
	v_add_f64 v[103:104], v[46:47], -v[101:102]
	v_add_f64 v[15:16], v[123:124], -v[15:16]
	v_add_f64 v[97:98], v[44:45], -v[97:98]
	v_fma_f64 v[46:47], v[46:47], 2.0, -v[103:104]
	v_fma_f64 v[44:45], v[44:45], 2.0, -v[97:98]
	ds_write2_b64 v63, v[44:45], v[46:47] offset1:10
	ds_write2_b64 v63, v[97:98], v[103:104] offset0:20 offset1:30
	v_mad_u32_u24 v44, v55, s6, 0
	v_lshlrev_b32_sdwa v45, v48, v56 dst_sel:DWORD dst_unused:UNUSED_PAD src0_sel:DWORD src1_sel:BYTE_0
	v_add_f64 v[55:56], v[99:100], -v[31:32]
	v_add_f64 v[97:98], v[77:78], -v[29:30]
	v_add3_u32 v79, v44, v45, v76
	v_fma_f64 v[31:32], v[99:100], 2.0, -v[55:56]
	v_add_f64 v[29:30], v[25:26], -v[97:98]
	v_add_f64 v[99:100], v[107:108], -v[21:22]
	v_fma_f64 v[21:22], v[61:62], 2.0, -v[101:102]
	v_add_f64 v[61:62], v[111:112], -v[39:40]
	v_add_f64 v[101:102], v[105:106], -v[19:20]
	;; [unrolled: 1-line block ×3, first 2 shown]
	v_fma_f64 v[33:34], v[115:116], 2.0, -v[41:42]
	v_add_f64 v[31:32], v[9:10], -v[31:32]
	v_fma_f64 v[25:26], v[25:26], 2.0, -v[29:30]
	v_add_f64 v[41:42], v[15:16], v[41:42]
	v_fma_f64 v[7:8], v[7:8], 2.0, -v[19:20]
	v_fma_f64 v[9:10], v[9:10], 2.0, -v[31:32]
	ds_write2_b64 v79, v[31:32], v[29:30] offset0:20 offset1:30
	v_add_f64 v[31:32], v[7:8], -v[33:34]
	ds_write2_b64 v79, v[9:10], v[25:26] offset1:10
	v_add_f64 v[9:10], v[119:120], -v[17:18]
	v_add_f64 v[25:26], v[0:1], -v[27:28]
	v_fma_f64 v[27:28], v[107:108], 2.0, -v[99:100]
	v_add_f64 v[107:108], v[109:110], -v[35:36]
	v_add_f64 v[35:36], v[23:24], -v[101:102]
	v_add_f64 v[99:100], v[11:12], v[99:100]
	v_fma_f64 v[7:8], v[7:8], 2.0, -v[31:32]
	v_fma_f64 v[17:18], v[119:120], 2.0, -v[9:10]
	;; [unrolled: 1-line block ×3, first 2 shown]
	v_add_f64 v[59:60], v[9:10], v[59:60]
	v_add_f64 v[27:28], v[5:6], -v[27:28]
	v_add_f64 v[29:30], v[25:26], -v[107:108]
	;; [unrolled: 1-line block ×3, first 2 shown]
	v_fma_f64 v[21:22], v[111:112], 2.0, -v[61:62]
	v_fma_f64 v[119:120], v[9:10], 2.0, -v[59:60]
	;; [unrolled: 1-line block ×4, first 2 shown]
	v_mad_u32_u24 v23, v49, s6, 0
	v_lshlrev_b32_sdwa v24, v48, v50 dst_sel:DWORD dst_unused:UNUSED_PAD src0_sel:DWORD src1_sel:BYTE_0
	v_add3_u32 v81, v23, v24, v76
	v_fma_f64 v[115:116], v[17:18], 2.0, -v[103:104]
	v_add_f64 v[21:22], v[0:1], -v[21:22]
	v_fma_f64 v[17:18], v[25:26], 2.0, -v[29:30]
	v_add_f64 v[111:112], v[57:58], -v[37:38]
	ds_write2_b64 v81, v[5:6], v[9:10] offset1:10
	ds_write2_b64 v81, v[27:28], v[35:36] offset0:20 offset1:30
	v_mad_u32_u24 v5, v51, s6, 0
	v_lshlrev_b32_sdwa v6, v48, v52 dst_sel:DWORD dst_unused:UNUSED_PAD src0_sel:DWORD src1_sel:BYTE_0
	v_add3_u32 v88, v5, v6, v76
	v_fma_f64 v[50:51], v[105:106], 2.0, -v[101:102]
	v_fma_f64 v[0:1], v[0:1], 2.0, -v[21:22]
	ds_write2_b64 v88, v[0:1], v[17:18] offset1:10
	ds_write2_b64 v88, v[21:22], v[29:30] offset0:20 offset1:30
	v_lshlrev_b32_sdwa v1, v48, v54 dst_sel:DWORD dst_unused:UNUSED_PAD src0_sel:DWORD src1_sel:BYTE_0
	v_fma_f64 v[48:49], v[77:78], 2.0, -v[97:98]
	v_fma_f64 v[77:78], v[113:114], 2.0, -v[2:3]
	;; [unrolled: 1-line block ×3, first 2 shown]
	v_mad_u32_u24 v0, v53, s6, 0
	v_fma_f64 v[52:53], v[109:110], 2.0, -v[107:108]
	v_fma_f64 v[101:102], v[117:118], 2.0, -v[13:14]
	;; [unrolled: 1-line block ×4, first 2 shown]
	v_add_f64 v[33:34], v[19:20], -v[111:112]
	v_add_f64 v[48:49], v[77:78], -v[48:49]
	v_add_f64 v[54:55], v[2:3], v[55:56]
	v_add_f64 v[50:51], v[97:98], -v[50:51]
	v_add_f64 v[61:62], v[13:14], v[61:62]
	v_add_f64 v[52:53], v[101:102], -v[52:53]
	v_fma_f64 v[11:12], v[11:12], 2.0, -v[99:100]
	v_add_f64 v[56:57], v[105:106], -v[57:58]
	v_fma_f64 v[19:20], v[19:20], 2.0, -v[33:34]
	v_fma_f64 v[77:78], v[77:78], 2.0, -v[48:49]
	v_fma_f64 v[2:3], v[2:3], 2.0, -v[54:55]
	v_fma_f64 v[97:98], v[97:98], 2.0, -v[50:51]
	v_fma_f64 v[13:14], v[13:14], 2.0, -v[61:62]
	v_fma_f64 v[101:102], v[101:102], 2.0, -v[52:53]
	v_add3_u32 v92, v0, v1, v76
	v_fma_f64 v[105:106], v[105:106], 2.0, -v[56:57]
	v_fma_f64 v[15:16], v[15:16], 2.0, -v[41:42]
	ds_write2_b64 v92, v[7:8], v[19:20] offset1:10
	ds_write2_b64 v92, v[31:32], v[33:34] offset0:20 offset1:30
	s_waitcnt lgkmcnt(0)
	; wave barrier
	s_waitcnt lgkmcnt(0)
	ds_read2_b64 v[25:28], v64 offset0:160 offset1:176
	ds_read2_b64 v[29:32], v64 offset0:224 offset1:240
	ds_read_b64 v[17:18], v65
	ds_read_b64 v[125:126], v66
	;; [unrolled: 1-line block ×10, first 2 shown]
	ds_read2_b64 v[33:36], v71 offset1:16
	ds_read2_b64 v[37:40], v64 offset0:192 offset1:208
	ds_read2_b64 v[44:47], v71 offset0:32 offset1:48
	s_waitcnt lgkmcnt(0)
	; wave barrier
	s_waitcnt lgkmcnt(0)
	ds_write2_b64 v63, v[115:116], v[119:120] offset1:10
	ds_write2_b64 v63, v[103:104], v[59:60] offset0:20 offset1:30
	ds_write2_b64 v79, v[77:78], v[2:3] offset1:10
	ds_write2_b64 v79, v[48:49], v[54:55] offset0:20 offset1:30
	;; [unrolled: 2-line block ×5, first 2 shown]
	v_mul_u32_u24_e32 v2, 3, v80
	v_lshlrev_b32_e32 v79, 4, v2
	s_waitcnt lgkmcnt(0)
	; wave barrier
	s_waitcnt lgkmcnt(0)
	global_load_dwordx4 v[11:14], v79, s[12:13] offset:496
	v_mul_i32_i24_e32 v3, 3, v89
	v_lshlrev_b64 v[2:3], 4, v[3:4]
	v_add_co_u32_e64 v15, s[0:1], s12, v2
	v_addc_co_u32_e64 v16, s[0:1], v43, v3, s[0:1]
	global_load_dwordx4 v[48:51], v[15:16], off offset:496
	global_load_dwordx4 v[52:55], v[15:16], off offset:512
	v_add_u32_e32 v2, -8, v80
	v_cmp_gt_u32_e64 s[0:1], 40, v86
	v_cndmask_b32_e64 v2, v2, v86, s[0:1]
	v_mul_i32_i24_e32 v3, 3, v2
	v_lshlrev_b64 v[41:42], 4, v[3:4]
	v_mov_b32_e32 v3, 0x500
	v_add_co_u32_e64 v41, s[0:1], s12, v41
	v_addc_co_u32_e64 v42, s[0:1], v43, v42, s[0:1]
	global_load_dwordx4 v[56:59], v[41:42], off offset:512
	global_load_dwordx4 v[60:63], v79, s[12:13] offset:480
	global_load_dwordx4 v[101:104], v[15:16], off offset:480
	ds_read2_b64 v[97:100], v64 offset0:160 offset1:176
	v_cmp_lt_u32_e64 s[0:1], 39, v86
	v_cndmask_b32_e64 v3, 0, v3, s[0:1]
	v_add_u32_e32 v3, 0, v3
	v_lshlrev_b32_e32 v2, 3, v2
	s_waitcnt vmcnt(5) lgkmcnt(0)
	v_mul_f64 v[15:16], v[97:98], v[13:14]
	v_mul_f64 v[13:14], v[25:26], v[13:14]
	s_waitcnt vmcnt(4)
	v_mul_f64 v[77:78], v[99:100], v[50:51]
	v_mul_f64 v[50:51], v[27:28], v[50:51]
	v_fma_f64 v[105:106], v[25:26], v[11:12], -v[15:16]
	v_fma_f64 v[97:98], v[97:98], v[11:12], v[13:14]
	global_load_dwordx4 v[11:14], v[41:42], off offset:496
	v_fma_f64 v[77:78], v[27:28], v[48:49], -v[77:78]
	v_fma_f64 v[99:100], v[99:100], v[48:49], v[50:51]
	global_load_dwordx4 v[48:51], v79, s[12:13] offset:880
	ds_read2_b64 v[25:28], v71 offset1:16
	s_waitcnt vmcnt(5) lgkmcnt(0)
	v_mul_f64 v[15:16], v[25:26], v[54:55]
	v_mul_f64 v[54:55], v[33:34], v[54:55]
	v_fma_f64 v[107:108], v[33:34], v[52:53], -v[15:16]
	v_fma_f64 v[109:110], v[25:26], v[52:53], v[54:55]
	global_load_dwordx4 v[52:55], v79, s[12:13] offset:512
	s_waitcnt vmcnt(5)
	v_mul_f64 v[15:16], v[27:28], v[58:59]
	ds_read_b64 v[25:26], v66
	v_fma_f64 v[111:112], v[35:36], v[56:57], -v[15:16]
	v_mul_f64 v[15:16], v[35:36], v[58:59]
	ds_read_b64 v[58:59], v68
	s_waitcnt vmcnt(3) lgkmcnt(0)
	v_mul_f64 v[33:34], v[58:59], v[103:104]
	v_fma_f64 v[56:57], v[27:28], v[56:57], v[15:16]
	v_mul_f64 v[15:16], v[25:26], v[62:63]
	v_mul_f64 v[27:28], v[125:126], v[62:63]
	v_fma_f64 v[62:63], v[125:126], v[60:61], -v[15:16]
	v_mul_f64 v[15:16], v[127:128], v[103:104]
	v_fma_f64 v[103:104], v[127:128], v[101:102], -v[33:34]
	global_load_dwordx4 v[33:36], v79, s[12:13] offset:1648
	v_fma_f64 v[60:61], v[25:26], v[60:61], v[27:28]
	ds_read2_b64 v[25:28], v64 offset0:192 offset1:208
	v_fma_f64 v[58:59], v[58:59], v[101:102], v[15:16]
	s_waitcnt vmcnt(3) lgkmcnt(0)
	v_mul_f64 v[15:16], v[25:26], v[13:14]
	v_mul_f64 v[13:14], v[37:38], v[13:14]
	s_waitcnt vmcnt(2)
	v_mul_f64 v[101:102], v[27:28], v[50:51]
	v_fma_f64 v[37:38], v[37:38], v[11:12], -v[15:16]
	v_mul_f64 v[15:16], v[39:40], v[50:51]
	v_fma_f64 v[113:114], v[25:26], v[11:12], v[13:14]
	ds_read2_b64 v[11:14], v64 offset0:224 offset1:240
	v_fma_f64 v[39:40], v[39:40], v[48:49], -v[101:102]
	v_add_f64 v[37:38], v[9:10], -v[37:38]
	v_fma_f64 v[48:49], v[27:28], v[48:49], v[15:16]
	global_load_dwordx4 v[25:28], v79, s[12:13] offset:896
	s_waitcnt vmcnt(2) lgkmcnt(0)
	v_mul_f64 v[15:16], v[13:14], v[54:55]
	v_mul_f64 v[50:51], v[31:32], v[54:55]
	v_fma_f64 v[9:10], v[9:10], 2.0, -v[37:38]
	v_fma_f64 v[54:55], v[31:32], v[52:53], -v[15:16]
	v_fma_f64 v[50:51], v[13:14], v[52:53], v[50:51]
	global_load_dwordx4 v[13:16], v79, s[12:13] offset:1664
	v_add_f64 v[54:55], v[62:63], -v[54:55]
	v_add_f64 v[50:51], v[60:61], -v[50:51]
	v_fma_f64 v[60:61], v[60:61], 2.0, -v[50:51]
	s_waitcnt vmcnt(2)
	v_mul_f64 v[31:32], v[11:12], v[35:36]
	v_fma_f64 v[52:53], v[29:30], v[33:34], -v[31:32]
	v_mul_f64 v[29:30], v[29:30], v[35:36]
	v_fma_f64 v[101:102], v[11:12], v[33:34], v[29:30]
	global_load_dwordx4 v[33:36], v[41:42], off offset:480
	ds_read2_b64 v[29:32], v71 offset0:32 offset1:48
	s_waitcnt vmcnt(2) lgkmcnt(0)
	v_mul_f64 v[11:12], v[29:30], v[27:28]
	v_mul_f64 v[27:28], v[44:45], v[27:28]
	v_fma_f64 v[41:42], v[44:45], v[25:26], -v[11:12]
	v_fma_f64 v[29:30], v[29:30], v[25:26], v[27:28]
	global_load_dwordx4 v[25:28], v79, s[12:13] offset:864
	s_waitcnt vmcnt(2)
	v_mul_f64 v[11:12], v[31:32], v[15:16]
	v_mul_f64 v[15:16], v[46:47], v[15:16]
	v_fma_f64 v[43:44], v[46:47], v[13:14], -v[11:12]
	v_fma_f64 v[15:16], v[31:32], v[13:14], v[15:16]
	global_load_dwordx4 v[11:14], v79, s[12:13] offset:1632
	ds_read_b64 v[31:32], v70
	s_waitcnt vmcnt(2) lgkmcnt(0)
	v_mul_f64 v[45:46], v[31:32], v[35:36]
	v_fma_f64 v[45:46], v[23:24], v[33:34], -v[45:46]
	v_mul_f64 v[23:24], v[23:24], v[35:36]
	ds_read_b64 v[35:36], v65
	s_waitcnt lgkmcnt(0)
	v_add_f64 v[97:98], v[35:36], -v[97:98]
	v_add_f64 v[111:112], v[45:46], -v[111:112]
	v_fma_f64 v[23:24], v[31:32], v[33:34], v[23:24]
	ds_read_b64 v[31:32], v73
	v_fma_f64 v[45:46], v[45:46], 2.0, -v[111:112]
	v_add_f64 v[56:57], v[23:24], -v[56:57]
	v_add_f64 v[45:46], v[9:10], -v[45:46]
	v_fma_f64 v[23:24], v[23:24], 2.0, -v[56:57]
	s_waitcnt vmcnt(1) lgkmcnt(0)
	v_mul_f64 v[33:34], v[31:32], v[27:28]
	v_fma_f64 v[9:10], v[9:10], 2.0, -v[45:46]
	v_fma_f64 v[33:34], v[21:22], v[25:26], -v[33:34]
	v_mul_f64 v[21:22], v[21:22], v[27:28]
	v_add_f64 v[27:28], v[17:18], -v[105:106]
	v_add_f64 v[41:42], v[33:34], -v[41:42]
	v_fma_f64 v[21:22], v[31:32], v[25:26], v[21:22]
	ds_read_b64 v[25:26], v75
	v_fma_f64 v[31:32], v[35:36], 2.0, -v[97:98]
	v_fma_f64 v[35:36], v[62:63], 2.0, -v[54:55]
	v_add_f64 v[50:51], v[27:28], -v[50:51]
	v_fma_f64 v[17:18], v[17:18], 2.0, -v[27:28]
	s_waitcnt vmcnt(0) lgkmcnt(0)
	v_mul_f64 v[62:63], v[25:26], v[13:14]
	v_mul_f64 v[13:14], v[19:20], v[13:14]
	v_add_f64 v[29:30], v[21:22], -v[29:30]
	v_fma_f64 v[33:34], v[33:34], 2.0, -v[41:42]
	v_add_f64 v[60:61], v[31:32], -v[60:61]
	v_add_f64 v[54:55], v[97:98], v[54:55]
	v_add_f64 v[35:36], v[17:18], -v[35:36]
	v_fma_f64 v[19:20], v[19:20], v[11:12], -v[62:63]
	ds_read_b64 v[62:63], v67
	v_fma_f64 v[11:12], v[25:26], v[11:12], v[13:14]
	ds_read_b64 v[13:14], v72
	ds_read_b64 v[25:26], v69
	;; [unrolled: 1-line block ×3, first 2 shown]
	v_fma_f64 v[115:116], v[31:32], 2.0, -v[60:61]
	v_add_f64 v[31:32], v[7:8], -v[77:78]
	s_waitcnt lgkmcnt(3)
	v_add_f64 v[77:78], v[62:63], -v[99:100]
	v_add_f64 v[99:100], v[103:104], -v[107:108]
	;; [unrolled: 1-line block ×3, first 2 shown]
	s_waitcnt lgkmcnt(1)
	v_add_f64 v[109:110], v[25:26], -v[113:114]
	v_add_f64 v[43:44], v[19:20], -v[43:44]
	;; [unrolled: 1-line block ×3, first 2 shown]
	v_fma_f64 v[21:22], v[21:22], 2.0, -v[29:30]
	v_fma_f64 v[7:8], v[7:8], 2.0, -v[31:32]
	;; [unrolled: 1-line block ×6, first 2 shown]
	v_add_f64 v[107:108], v[31:32], -v[107:108]
	v_fma_f64 v[19:20], v[19:20], 2.0, -v[43:44]
	v_fma_f64 v[11:12], v[11:12], 2.0, -v[15:16]
	v_fma_f64 v[62:63], v[62:63], 2.0, -v[77:78]
	s_waitcnt lgkmcnt(0)
	v_add_f64 v[103:104], v[7:8], -v[103:104]
	; wave barrier
	v_add_f64 v[113:114], v[25:26], -v[23:24]
	v_fma_f64 v[23:24], v[27:28], 2.0, -v[50:51]
	v_fma_f64 v[27:28], v[31:32], 2.0, -v[107:108]
	v_add_f64 v[31:32], v[5:6], -v[39:40]
	v_add_f64 v[39:40], v[13:14], -v[48:49]
	;; [unrolled: 1-line block ×4, first 2 shown]
	v_fma_f64 v[7:8], v[7:8], 2.0, -v[103:104]
	v_fma_f64 v[117:118], v[25:26], 2.0, -v[113:114]
	v_add_f64 v[25:26], v[37:38], -v[56:57]
	v_add_f64 v[56:57], v[109:110], v[111:112]
	v_fma_f64 v[5:6], v[5:6], 2.0, -v[31:32]
	v_fma_f64 v[13:14], v[13:14], 2.0, -v[39:40]
	;; [unrolled: 1-line block ×4, first 2 shown]
	v_add_f64 v[111:112], v[39:40], v[41:42]
	ds_write2_b64 v64, v[17:18], v[23:24] offset1:40
	ds_write2_b64 v64, v[35:36], v[50:51] offset0:80 offset1:120
	ds_write2_b64 v67, v[7:8], v[27:28] offset1:40
	ds_write2_b64 v67, v[103:104], v[107:108] offset0:80 offset1:120
	v_fma_f64 v[37:38], v[37:38], 2.0, -v[25:26]
	v_fma_f64 v[105:106], v[109:110], 2.0, -v[56:57]
	v_add_f64 v[33:34], v[5:6], -v[33:34]
	v_add_f64 v[109:110], v[13:14], -v[21:22]
	;; [unrolled: 1-line block ×6, first 2 shown]
	v_add3_u32 v7, v3, v2, v76
	v_add_f64 v[121:122], v[52:53], v[43:44]
	v_fma_f64 v[5:6], v[5:6], 2.0, -v[33:34]
	v_fma_f64 v[123:124], v[13:14], 2.0, -v[109:110]
	;; [unrolled: 1-line block ×6, first 2 shown]
	ds_write2_b64 v7, v[9:10], v[37:38] offset1:40
	ds_write2_b64 v7, v[45:46], v[25:26] offset0:80 offset1:120
	ds_write2_b64 v64, v[5:6], v[0:1] offset0:168 offset1:184
	;; [unrolled: 1-line block ×3, first 2 shown]
	v_add_u32_e32 v5, 0x400, v64
	ds_write2_b64 v5, v[33:34], v[19:20] offset0:120 offset1:136
	ds_write2_b64 v71, v[21:22], v[11:12] offset0:32 offset1:48
	s_waitcnt lgkmcnt(0)
	; wave barrier
	s_waitcnt lgkmcnt(0)
	ds_read_b64 v[28:29], v65
	ds_read2_b64 v[16:19], v64 offset0:160 offset1:176
	ds_read_b64 v[30:31], v69
	ds_read2_b64 v[20:23], v64 offset0:192 offset1:208
	ds_read2_b64 v[24:27], v64 offset0:224 offset1:240
	ds_read_b64 v[40:41], v68
	ds_read_b64 v[32:33], v67
	;; [unrolled: 1-line block ×3, first 2 shown]
	ds_read2_b64 v[12:15], v71 offset1:16
	ds_read_b64 v[44:45], v73
	ds_read_b64 v[34:35], v72
	;; [unrolled: 1-line block ×3, first 2 shown]
	ds_read2_b64 v[0:3], v71 offset0:32 offset1:48
	ds_read_b64 v[38:39], v74
	ds_read_b64 v[46:47], v75
	v_add_f64 v[58:59], v[62:63], -v[58:59]
	v_add_f64 v[99:100], v[77:78], v[99:100]
	v_fma_f64 v[97:98], v[97:98], 2.0, -v[54:55]
	v_fma_f64 v[101:102], v[101:102], 2.0, -v[119:120]
	;; [unrolled: 1-line block ×3, first 2 shown]
	s_waitcnt lgkmcnt(0)
	; wave barrier
	s_waitcnt lgkmcnt(0)
	v_fma_f64 v[62:63], v[62:63], 2.0, -v[58:59]
	v_fma_f64 v[77:78], v[77:78], 2.0, -v[99:100]
	ds_write2_b64 v64, v[115:116], v[97:98] offset1:40
	ds_write2_b64 v64, v[60:61], v[54:55] offset0:80 offset1:120
	ds_write2_b64 v67, v[62:63], v[77:78] offset1:40
	ds_write2_b64 v67, v[58:59], v[99:100] offset0:80 offset1:120
	;; [unrolled: 2-line block ×3, first 2 shown]
	ds_write2_b64 v64, v[123:124], v[101:102] offset0:168 offset1:184
	ds_write2_b64 v64, v[125:126], v[48:49] offset0:208 offset1:224
	ds_write2_b64 v5, v[109:110], v[119:120] offset0:120 offset1:136
	ds_write2_b64 v71, v[111:112], v[121:122] offset0:32 offset1:48
	s_waitcnt lgkmcnt(0)
	; wave barrier
	s_waitcnt lgkmcnt(0)
	s_and_saveexec_b64 s[0:1], vcc
	s_cbranch_execz .LBB0_15
; %bb.14:
	v_mov_b32_e32 v97, v4
	v_lshlrev_b64 v[5:6], 4, v[96:97]
	v_mov_b32_e32 v11, s13
	v_add_co_u32_e32 v9, vcc, s12, v5
	v_mov_b32_e32 v92, v4
	v_addc_co_u32_e32 v10, vcc, v11, v6, vcc
	v_lshlrev_b64 v[5:6], 4, v[91:92]
	v_mov_b32_e32 v96, v4
	v_add_co_u32_e32 v52, vcc, s12, v5
	v_addc_co_u32_e32 v53, vcc, v11, v6, vcc
	global_load_dwordx4 v[5:8], v[9:10], off offset:2400
	global_load_dwordx4 v[48:51], v[52:53], off offset:2400
	v_lshlrev_b64 v[9:10], 4, v[95:96]
	v_mov_b32_e32 v91, v4
	v_add_co_u32_e32 v9, vcc, s12, v9
	v_addc_co_u32_e32 v10, vcc, v11, v10, vcc
	global_load_dwordx4 v[52:55], v[9:10], off offset:2400
	v_lshlrev_b64 v[9:10], 4, v[90:91]
	v_mov_b32_e32 v95, v4
	v_add_co_u32_e32 v9, vcc, s12, v9
	v_addc_co_u32_e32 v10, vcc, v11, v10, vcc
	;; [unrolled: 5-line block ×6, first 2 shown]
	global_load_dwordx4 v[95:98], v[9:10], off offset:2400
	v_lshlrev_b64 v[9:10], 4, v[89:90]
	v_mov_b32_e32 v81, v4
	v_lshlrev_b64 v[89:90], 4, v[80:81]
	v_add_co_u32_e32 v9, vcc, s12, v9
	v_addc_co_u32_e32 v10, vcc, v11, v10, vcc
	v_mul_lo_u32 v122, s4, v85
	global_load_dwordx4 v[85:88], v[9:10], off offset:2400
	v_add_co_u32_e32 v9, vcc, s12, v89
	v_addc_co_u32_e32 v10, vcc, v11, v90, vcc
	global_load_dwordx4 v[99:102], v[9:10], off offset:2400
	ds_read2_b64 v[103:106], v71 offset0:32 offset1:48
	ds_read2_b64 v[107:110], v71 offset1:16
	ds_read_b64 v[89:90], v75
	ds_read_b64 v[74:75], v74
	;; [unrolled: 1-line block ×6, first 2 shown]
	v_mad_u64_u32 v[111:112], s[0:1], s4, v84, 0
	s_mov_b32 s0, 0xcccccccd
	v_mul_lo_u32 v121, s5, v84
	s_movk_i32 s1, 0xa0
	v_add3_u32 v112, v112, v122, v121
	s_waitcnt vmcnt(9) lgkmcnt(7)
	v_mul_f64 v[9:10], v[5:6], v[105:106]
	v_mul_f64 v[71:72], v[7:8], v[105:106]
	s_waitcnt vmcnt(8)
	v_mul_f64 v[105:106], v[0:1], v[50:51]
	v_mul_f64 v[50:51], v[103:104], v[50:51]
	s_waitcnt vmcnt(7)
	v_mul_f64 v[69:70], v[14:15], v[54:55]
	s_waitcnt lgkmcnt(6)
	v_mul_f64 v[54:55], v[109:110], v[54:55]
	v_fma_f64 v[7:8], v[2:3], v[7:8], v[9:10]
	v_fma_f64 v[4:5], v[2:3], v[5:6], -v[71:72]
	v_fma_f64 v[9:10], v[103:104], v[48:49], v[105:106]
	v_fma_f64 v[48:49], v[0:1], v[48:49], -v[50:51]
	s_waitcnt vmcnt(6)
	v_mul_f64 v[71:72], v[12:13], v[58:59]
	v_fma_f64 v[50:51], v[109:110], v[52:53], v[69:70]
	v_fma_f64 v[14:15], v[14:15], v[52:53], -v[54:55]
	s_waitcnt lgkmcnt(5)
	v_add_f64 v[2:3], v[89:90], -v[7:8]
	v_add_f64 v[0:1], v[46:47], -v[4:5]
	v_mul_f64 v[58:59], v[107:108], v[58:59]
	ds_read_b64 v[68:69], v68
	s_waitcnt lgkmcnt(4)
	v_add_f64 v[10:11], v[113:114], -v[9:10]
	v_fma_f64 v[52:53], v[107:108], v[56:57], v[71:72]
	v_add_f64 v[8:9], v[44:45], -v[48:49]
	s_waitcnt vmcnt(5)
	v_mul_f64 v[72:73], v[26:27], v[62:63]
	v_fma_f64 v[6:7], v[89:90], 2.0, -v[2:3]
	ds_read_b64 v[89:90], v67
	v_fma_f64 v[4:5], v[46:47], 2.0, -v[0:1]
	v_fma_f64 v[70:71], v[12:13], v[56:57], -v[58:59]
	v_add_f64 v[48:49], v[42:43], -v[14:15]
	s_waitcnt lgkmcnt(1)
	v_add_f64 v[46:47], v[68:69], -v[52:53]
	ds_read2_b64 v[52:55], v64 offset0:224 offset1:240
	s_waitcnt vmcnt(4)
	v_mul_f64 v[103:104], v[24:25], v[78:79]
	v_fma_f64 v[12:13], v[44:45], 2.0, -v[8:9]
	v_add_f64 v[50:51], v[117:118], -v[50:51]
	v_fma_f64 v[14:15], v[113:114], 2.0, -v[10:11]
	s_waitcnt lgkmcnt(0)
	v_mul_f64 v[62:63], v[54:55], v[62:63]
	v_add_f64 v[44:45], v[40:41], -v[70:71]
	v_fma_f64 v[54:55], v[54:55], v[60:61], v[72:73]
	v_mul_f64 v[71:72], v[52:53], v[78:79]
	v_fma_f64 v[56:57], v[42:43], 2.0, -v[48:49]
	v_fma_f64 v[42:43], v[68:69], 2.0, -v[46:47]
	v_fma_f64 v[52:53], v[52:53], v[76:77], v[103:104]
	s_waitcnt vmcnt(3)
	v_mul_f64 v[78:79], v[22:23], v[93:94]
	v_fma_f64 v[60:61], v[26:27], v[60:61], -v[62:63]
	ds_read_b64 v[62:63], v66
	ds_read_b64 v[65:66], v65
	ds_read2_b64 v[67:70], v64 offset0:192 offset1:208
	v_fma_f64 v[71:72], v[24:25], v[76:77], -v[71:72]
	s_waitcnt vmcnt(2)
	v_mul_f64 v[76:77], v[20:21], v[97:98]
	s_waitcnt lgkmcnt(2)
	v_add_f64 v[26:27], v[62:63], -v[54:55]
	v_add_f64 v[54:55], v[74:75], -v[52:53]
	s_waitcnt lgkmcnt(0)
	v_mul_f64 v[93:94], v[69:70], v[93:94]
	v_fma_f64 v[78:79], v[69:70], v[91:92], v[78:79]
	v_fma_f64 v[40:41], v[40:41], 2.0, -v[44:45]
	v_add_f64 v[24:25], v[36:37], -v[60:61]
	v_add_f64 v[52:53], v[38:39], -v[71:72]
	v_fma_f64 v[58:59], v[117:118], 2.0, -v[50:51]
	v_fma_f64 v[62:63], v[62:63], 2.0, -v[26:27]
	;; [unrolled: 1-line block ×3, first 2 shown]
	v_fma_f64 v[22:23], v[22:23], v[91:92], -v[93:94]
	v_fma_f64 v[91:92], v[67:68], v[95:96], v[76:77]
	v_add_f64 v[73:74], v[115:116], -v[78:79]
	ds_read2_b64 v[75:78], v64 offset0:160 offset1:176
	v_mul_f64 v[93:94], v[67:68], v[97:98]
	v_fma_f64 v[67:68], v[38:39], 2.0, -v[52:53]
	s_waitcnt vmcnt(1)
	v_mul_f64 v[38:39], v[18:19], v[87:88]
	s_waitcnt vmcnt(0)
	v_mul_f64 v[97:98], v[16:17], v[101:102]
	v_add_f64 v[71:72], v[34:35], -v[22:23]
	v_add_f64 v[22:23], v[119:120], -v[91:92]
	s_waitcnt lgkmcnt(0)
	v_mul_f64 v[91:92], v[77:78], v[87:88]
	v_fma_f64 v[60:61], v[36:37], 2.0, -v[24:25]
	v_fma_f64 v[20:21], v[20:21], v[95:96], -v[93:94]
	v_mul_f64 v[93:94], v[75:76], v[101:102]
	v_fma_f64 v[38:39], v[77:78], v[85:86], v[38:39]
	v_fma_f64 v[75:76], v[75:76], v[99:100], v[97:98]
	v_fma_f64 v[36:37], v[115:116], 2.0, -v[73:74]
	v_fma_f64 v[87:88], v[119:120], 2.0, -v[22:23]
	v_fma_f64 v[77:78], v[18:19], v[85:86], -v[91:92]
	v_mul_hi_u32 v18, v80, s0
	v_add_f64 v[20:21], v[30:31], -v[20:21]
	v_fma_f64 v[84:85], v[16:17], v[99:100], -v[93:94]
	v_fma_f64 v[34:35], v[34:35], 2.0, -v[71:72]
	v_lshrrev_b32_e32 v16, 7, v18
	v_mul_lo_u32 v64, v16, s1
	v_add_f64 v[18:19], v[89:90], -v[38:39]
	v_add_f64 v[16:17], v[32:33], -v[77:78]
	;; [unrolled: 1-line block ×3, first 2 shown]
	v_sub_u32_e32 v64, v80, v64
	v_mad_u64_u32 v[38:39], s[4:5], s2, v64, 0
	v_add_f64 v[75:76], v[28:29], -v[84:85]
	v_fma_f64 v[85:86], v[30:31], 2.0, -v[20:21]
	v_fma_f64 v[91:92], v[89:90], 2.0, -v[18:19]
	;; [unrolled: 1-line block ×3, first 2 shown]
	v_lshlrev_b64 v[32:33], 4, v[111:112]
	v_mov_b32_e32 v30, v39
	v_mad_u64_u32 v[93:94], s[4:5], s3, v64, v[30:31]
	v_fma_f64 v[30:31], v[65:66], 2.0, -v[77:78]
	v_mov_b32_e32 v65, s11
	v_add_co_u32_e32 v66, vcc, s10, v32
	v_addc_co_u32_e32 v65, vcc, v65, v33, vcc
	v_lshlrev_b64 v[32:33], 4, v[82:83]
	v_fma_f64 v[28:29], v[28:29], 2.0, -v[75:76]
	v_add_co_u32_e32 v79, vcc, v66, v32
	v_addc_co_u32_e32 v83, vcc, v65, v33, vcc
	v_add_u32_e32 v65, 16, v80
	v_mul_hi_u32 v66, v65, s0
	v_add_u32_e32 v81, 0xa0, v64
	v_mov_b32_e32 v39, v93
	v_lshlrev_b64 v[32:33], 4, v[38:39]
	v_lshrrev_b32_e32 v66, 7, v66
	v_mul_lo_u32 v64, v66, s1
	v_mad_u64_u32 v[38:39], s[4:5], s2, v81, 0
	v_add_co_u32_e32 v32, vcc, v79, v32
	v_sub_u32_e32 v64, v65, v64
	v_mad_u64_u32 v[64:65], s[4:5], v66, s6, v[64:65]
	v_addc_co_u32_e32 v33, vcc, v83, v33, vcc
	global_store_dwordx4 v[32:33], v[28:31], off
	v_add_u32_e32 v32, 32, v80
	v_mad_u64_u32 v[65:66], s[4:5], s3, v81, v[39:40]
	v_mul_hi_u32 v33, v32, s0
	v_mad_u64_u32 v[81:82], s[4:5], s2, v64, 0
	v_mov_b32_e32 v39, v65
	v_lshrrev_b32_e32 v33, 7, v33
	v_lshlrev_b64 v[28:29], 4, v[38:39]
	v_mov_b32_e32 v30, v82
	v_mul_lo_u32 v39, v33, s1
	v_mad_u64_u32 v[30:31], s[4:5], s3, v64, v[30:31]
	v_add_u32_e32 v38, 0xa0, v64
	v_sub_u32_e32 v32, v32, v39
	v_mov_b32_e32 v82, v30
	v_mad_u64_u32 v[30:31], s[4:5], s2, v38, 0
	v_mad_u64_u32 v[32:33], s[4:5], v33, s6, v[32:33]
	v_add_co_u32_e32 v28, vcc, v79, v28
	v_addc_co_u32_e32 v29, vcc, v83, v29, vcc
	v_mad_u64_u32 v[38:39], s[4:5], s3, v38, v[31:32]
	global_store_dwordx4 v[28:29], v[75:78], off
	v_lshlrev_b64 v[28:29], 4, v[81:82]
	v_mov_b32_e32 v31, v38
	v_add_co_u32_e32 v28, vcc, v79, v28
	v_addc_co_u32_e32 v29, vcc, v83, v29, vcc
	global_store_dwordx4 v[28:29], v[89:92], off
	v_lshlrev_b64 v[28:29], 4, v[30:31]
	v_mad_u64_u32 v[64:65], s[4:5], s2, v32, 0
	v_add_co_u32_e32 v28, vcc, v79, v28
	v_addc_co_u32_e32 v29, vcc, v83, v29, vcc
	global_store_dwordx4 v[28:29], v[16:19], off
	v_add_u32_e32 v28, 48, v80
	v_mul_hi_u32 v29, v28, s0
	v_mov_b32_e32 v30, v65
	v_mad_u64_u32 v[30:31], s[4:5], s3, v32, v[30:31]
	v_lshrrev_b32_e32 v29, 7, v29
	v_mul_lo_u32 v31, v29, s1
	v_mov_b32_e32 v65, v30
	v_add_u32_e32 v30, 0xa0, v32
	v_mad_u64_u32 v[18:19], s[4:5], s2, v30, 0
	v_sub_u32_e32 v28, v28, v31
	v_mad_u64_u32 v[28:29], s[4:5], v29, s6, v[28:29]
	v_mad_u64_u32 v[29:30], s[4:5], s3, v30, v[19:20]
	v_lshlrev_b64 v[16:17], 4, v[64:65]
	v_mad_u64_u32 v[30:31], s[4:5], s2, v28, 0
	v_add_co_u32_e32 v16, vcc, v79, v16
	v_addc_co_u32_e32 v17, vcc, v83, v17, vcc
	v_mov_b32_e32 v19, v29
	global_store_dwordx4 v[16:17], v[85:88], off
	v_lshlrev_b64 v[16:17], 4, v[18:19]
	v_mov_b32_e32 v18, v31
	v_add_co_u32_e32 v16, vcc, v79, v16
	v_addc_co_u32_e32 v17, vcc, v83, v17, vcc
	global_store_dwordx4 v[16:17], v[20:23], off
	v_mad_u64_u32 v[18:19], s[4:5], s3, v28, v[18:19]
	v_add_u32_e32 v20, 64, v80
	v_mul_hi_u32 v21, v20, s0
	v_add_u32_e32 v22, 0xa0, v28
	v_mov_b32_e32 v31, v18
	v_mad_u64_u32 v[18:19], s[4:5], s2, v22, 0
	v_lshrrev_b32_e32 v21, 7, v21
	v_mul_lo_u32 v23, v21, s1
	v_lshlrev_b64 v[16:17], 4, v[30:31]
	v_add_co_u32_e32 v16, vcc, v79, v16
	v_sub_u32_e32 v20, v20, v23
	v_mad_u64_u32 v[20:21], s[4:5], v21, s6, v[20:21]
	v_addc_co_u32_e32 v17, vcc, v83, v17, vcc
	v_mad_u64_u32 v[21:22], s[4:5], s3, v22, v[19:20]
	v_mad_u64_u32 v[22:23], s[4:5], s2, v20, 0
	v_mov_b32_e32 v19, v21
	global_store_dwordx4 v[16:17], v[34:37], off
	v_lshlrev_b64 v[16:17], 4, v[18:19]
	v_mov_b32_e32 v18, v23
	v_mad_u64_u32 v[18:19], s[4:5], s3, v20, v[18:19]
	v_add_co_u32_e32 v16, vcc, v79, v16
	v_addc_co_u32_e32 v17, vcc, v83, v17, vcc
	v_mov_b32_e32 v23, v18
	v_add_u32_e32 v21, 0x50, v80
	global_store_dwordx4 v[16:17], v[71:74], off
	v_lshlrev_b64 v[16:17], 4, v[22:23]
	v_mul_hi_u32 v22, v21, s0
	v_add_u32_e32 v23, 0xa0, v20
	v_mad_u64_u32 v[18:19], s[4:5], s2, v23, 0
	v_lshrrev_b32_e32 v22, 7, v22
	v_mul_lo_u32 v20, v22, s1
	v_add_co_u32_e32 v16, vcc, v79, v16
	v_addc_co_u32_e32 v17, vcc, v83, v17, vcc
	v_sub_u32_e32 v20, v21, v20
	v_mad_u64_u32 v[20:21], s[4:5], v22, s6, v[20:21]
	global_store_dwordx4 v[16:17], v[67:70], off
	v_mad_u64_u32 v[21:22], s[4:5], s3, v23, v[19:20]
	v_mad_u64_u32 v[22:23], s[4:5], s2, v20, 0
	v_mov_b32_e32 v19, v21
	v_lshlrev_b64 v[16:17], 4, v[18:19]
	v_mov_b32_e32 v18, v23
	v_mad_u64_u32 v[18:19], s[4:5], s3, v20, v[18:19]
	v_add_co_u32_e32 v16, vcc, v79, v16
	v_addc_co_u32_e32 v17, vcc, v83, v17, vcc
	v_mov_b32_e32 v23, v18
	v_add_u32_e32 v21, 0x60, v80
	global_store_dwordx4 v[16:17], v[52:55], off
	v_lshlrev_b64 v[16:17], 4, v[22:23]
	v_mul_hi_u32 v22, v21, s0
	v_add_u32_e32 v23, 0xa0, v20
	v_mad_u64_u32 v[18:19], s[4:5], s2, v23, 0
	v_lshrrev_b32_e32 v22, 7, v22
	v_mul_lo_u32 v20, v22, s1
	v_add_co_u32_e32 v16, vcc, v79, v16
	v_addc_co_u32_e32 v17, vcc, v83, v17, vcc
	v_sub_u32_e32 v20, v21, v20
	v_mad_u64_u32 v[20:21], s[4:5], v22, s6, v[20:21]
	global_store_dwordx4 v[16:17], v[60:63], off
	v_mad_u64_u32 v[21:22], s[4:5], s3, v23, v[19:20]
	v_mad_u64_u32 v[22:23], s[4:5], s2, v20, 0
	v_mov_b32_e32 v19, v21
	v_lshlrev_b64 v[16:17], 4, v[18:19]
	v_mov_b32_e32 v18, v23
	v_mad_u64_u32 v[18:19], s[4:5], s3, v20, v[18:19]
	v_add_co_u32_e32 v16, vcc, v79, v16
	v_addc_co_u32_e32 v17, vcc, v83, v17, vcc
	v_mov_b32_e32 v23, v18
	v_add_u32_e32 v21, 0x70, v80
	global_store_dwordx4 v[16:17], v[24:27], off
	v_lshlrev_b64 v[16:17], 4, v[22:23]
	v_mul_hi_u32 v22, v21, s0
	v_add_u32_e32 v23, 0xa0, v20
	v_mad_u64_u32 v[18:19], s[4:5], s2, v23, 0
	v_lshrrev_b32_e32 v22, 7, v22
	v_mul_lo_u32 v20, v22, s1
	v_add_co_u32_e32 v16, vcc, v79, v16
	v_addc_co_u32_e32 v17, vcc, v83, v17, vcc
	v_sub_u32_e32 v20, v21, v20
	v_mad_u64_u32 v[20:21], s[4:5], v22, s6, v[20:21]
	global_store_dwordx4 v[16:17], v[40:43], off
	v_mad_u64_u32 v[21:22], s[4:5], s3, v23, v[19:20]
	v_mad_u64_u32 v[22:23], s[4:5], s2, v20, 0
	v_mov_b32_e32 v19, v21
	v_lshlrev_b64 v[16:17], 4, v[18:19]
	v_mov_b32_e32 v18, v23
	v_mad_u64_u32 v[18:19], s[4:5], s3, v20, v[18:19]
	v_add_co_u32_e32 v16, vcc, v79, v16
	v_addc_co_u32_e32 v17, vcc, v83, v17, vcc
	v_mov_b32_e32 v23, v18
	v_add_u32_e32 v21, 0x80, v80
	global_store_dwordx4 v[16:17], v[44:47], off
	v_lshlrev_b64 v[16:17], 4, v[22:23]
	v_mul_hi_u32 v22, v21, s0
	v_add_u32_e32 v23, 0xa0, v20
	v_mad_u64_u32 v[18:19], s[4:5], s2, v23, 0
	v_lshrrev_b32_e32 v22, 7, v22
	v_mul_lo_u32 v20, v22, s1
	v_add_co_u32_e32 v16, vcc, v79, v16
	v_addc_co_u32_e32 v17, vcc, v83, v17, vcc
	v_sub_u32_e32 v20, v21, v20
	v_mad_u64_u32 v[20:21], s[4:5], v22, s6, v[20:21]
	global_store_dwordx4 v[16:17], v[56:59], off
	v_mad_u64_u32 v[21:22], s[4:5], s3, v23, v[19:20]
	v_mad_u64_u32 v[22:23], s[4:5], s2, v20, 0
	v_mov_b32_e32 v19, v21
	v_lshlrev_b64 v[16:17], 4, v[18:19]
	v_mov_b32_e32 v18, v23
	v_mad_u64_u32 v[18:19], s[4:5], s3, v20, v[18:19]
	v_add_co_u32_e32 v16, vcc, v79, v16
	v_addc_co_u32_e32 v17, vcc, v83, v17, vcc
	v_mov_b32_e32 v23, v18
	v_add_u32_e32 v21, 0x90, v80
	global_store_dwordx4 v[16:17], v[48:51], off
	v_lshlrev_b64 v[16:17], 4, v[22:23]
	v_mul_hi_u32 v22, v21, s0
	v_add_co_u32_e32 v16, vcc, v79, v16
	v_add_u32_e32 v20, 0xa0, v20
	v_addc_co_u32_e32 v17, vcc, v83, v17, vcc
	v_mad_u64_u32 v[18:19], s[4:5], s2, v20, 0
	global_store_dwordx4 v[16:17], v[12:15], off
	s_nop 0
	v_lshrrev_b32_e32 v14, 7, v22
	v_mul_lo_u32 v15, v14, s1
	v_mov_b32_e32 v12, v19
	v_mad_u64_u32 v[12:13], s[0:1], s3, v20, v[12:13]
	v_sub_u32_e32 v13, v21, v15
	v_mad_u64_u32 v[13:14], s[0:1], v14, s6, v[13:14]
	v_mov_b32_e32 v19, v12
	v_lshlrev_b64 v[14:15], 4, v[18:19]
	v_mad_u64_u32 v[16:17], s[0:1], s2, v13, 0
	v_add_co_u32_e32 v14, vcc, v79, v14
	v_mov_b32_e32 v12, v17
	v_mad_u64_u32 v[17:18], s[0:1], s3, v13, v[12:13]
	v_add_u32_e32 v18, 0xa0, v13
	v_mad_u64_u32 v[12:13], s[0:1], s2, v18, 0
	v_addc_co_u32_e32 v15, vcc, v83, v15, vcc
	global_store_dwordx4 v[14:15], v[8:11], off
	s_nop 0
	v_mov_b32_e32 v10, v13
	v_mad_u64_u32 v[10:11], s[0:1], s3, v18, v[10:11]
	v_lshlrev_b64 v[8:9], 4, v[16:17]
	v_add_co_u32_e32 v8, vcc, v79, v8
	v_addc_co_u32_e32 v9, vcc, v83, v9, vcc
	v_mov_b32_e32 v13, v10
	global_store_dwordx4 v[8:9], v[4:7], off
	s_nop 0
	v_lshlrev_b64 v[4:5], 4, v[12:13]
	v_add_co_u32_e32 v4, vcc, v79, v4
	v_addc_co_u32_e32 v5, vcc, v83, v5, vcc
	global_store_dwordx4 v[4:5], v[0:3], off
.LBB0_15:
	s_endpgm
	.section	.rodata,"a",@progbits
	.p2align	6, 0x0
	.amdhsa_kernel fft_rtc_fwd_len320_factors_10_4_4_2_wgs_64_tpt_16_halfLds_dp_op_CI_CI_sbrr_dirReg
		.amdhsa_group_segment_fixed_size 0
		.amdhsa_private_segment_fixed_size 0
		.amdhsa_kernarg_size 104
		.amdhsa_user_sgpr_count 6
		.amdhsa_user_sgpr_private_segment_buffer 1
		.amdhsa_user_sgpr_dispatch_ptr 0
		.amdhsa_user_sgpr_queue_ptr 0
		.amdhsa_user_sgpr_kernarg_segment_ptr 1
		.amdhsa_user_sgpr_dispatch_id 0
		.amdhsa_user_sgpr_flat_scratch_init 0
		.amdhsa_user_sgpr_private_segment_size 0
		.amdhsa_uses_dynamic_stack 0
		.amdhsa_system_sgpr_private_segment_wavefront_offset 0
		.amdhsa_system_sgpr_workgroup_id_x 1
		.amdhsa_system_sgpr_workgroup_id_y 0
		.amdhsa_system_sgpr_workgroup_id_z 0
		.amdhsa_system_sgpr_workgroup_info 0
		.amdhsa_system_vgpr_workitem_id 0
		.amdhsa_next_free_vgpr 129
		.amdhsa_next_free_sgpr 32
		.amdhsa_reserve_vcc 1
		.amdhsa_reserve_flat_scratch 0
		.amdhsa_float_round_mode_32 0
		.amdhsa_float_round_mode_16_64 0
		.amdhsa_float_denorm_mode_32 3
		.amdhsa_float_denorm_mode_16_64 3
		.amdhsa_dx10_clamp 1
		.amdhsa_ieee_mode 1
		.amdhsa_fp16_overflow 0
		.amdhsa_exception_fp_ieee_invalid_op 0
		.amdhsa_exception_fp_denorm_src 0
		.amdhsa_exception_fp_ieee_div_zero 0
		.amdhsa_exception_fp_ieee_overflow 0
		.amdhsa_exception_fp_ieee_underflow 0
		.amdhsa_exception_fp_ieee_inexact 0
		.amdhsa_exception_int_div_zero 0
	.end_amdhsa_kernel
	.text
.Lfunc_end0:
	.size	fft_rtc_fwd_len320_factors_10_4_4_2_wgs_64_tpt_16_halfLds_dp_op_CI_CI_sbrr_dirReg, .Lfunc_end0-fft_rtc_fwd_len320_factors_10_4_4_2_wgs_64_tpt_16_halfLds_dp_op_CI_CI_sbrr_dirReg
                                        ; -- End function
	.section	.AMDGPU.csdata,"",@progbits
; Kernel info:
; codeLenInByte = 12008
; NumSgprs: 36
; NumVgprs: 129
; ScratchSize: 0
; MemoryBound: 1
; FloatMode: 240
; IeeeMode: 1
; LDSByteSize: 0 bytes/workgroup (compile time only)
; SGPRBlocks: 4
; VGPRBlocks: 32
; NumSGPRsForWavesPerEU: 36
; NumVGPRsForWavesPerEU: 129
; Occupancy: 1
; WaveLimiterHint : 1
; COMPUTE_PGM_RSRC2:SCRATCH_EN: 0
; COMPUTE_PGM_RSRC2:USER_SGPR: 6
; COMPUTE_PGM_RSRC2:TRAP_HANDLER: 0
; COMPUTE_PGM_RSRC2:TGID_X_EN: 1
; COMPUTE_PGM_RSRC2:TGID_Y_EN: 0
; COMPUTE_PGM_RSRC2:TGID_Z_EN: 0
; COMPUTE_PGM_RSRC2:TIDIG_COMP_CNT: 0
	.type	__hip_cuid_a0ca73950ee030c3,@object ; @__hip_cuid_a0ca73950ee030c3
	.section	.bss,"aw",@nobits
	.globl	__hip_cuid_a0ca73950ee030c3
__hip_cuid_a0ca73950ee030c3:
	.byte	0                               ; 0x0
	.size	__hip_cuid_a0ca73950ee030c3, 1

	.ident	"AMD clang version 19.0.0git (https://github.com/RadeonOpenCompute/llvm-project roc-6.4.0 25133 c7fe45cf4b819c5991fe208aaa96edf142730f1d)"
	.section	".note.GNU-stack","",@progbits
	.addrsig
	.addrsig_sym __hip_cuid_a0ca73950ee030c3
	.amdgpu_metadata
---
amdhsa.kernels:
  - .args:
      - .actual_access:  read_only
        .address_space:  global
        .offset:         0
        .size:           8
        .value_kind:     global_buffer
      - .offset:         8
        .size:           8
        .value_kind:     by_value
      - .actual_access:  read_only
        .address_space:  global
        .offset:         16
        .size:           8
        .value_kind:     global_buffer
      - .actual_access:  read_only
        .address_space:  global
        .offset:         24
        .size:           8
        .value_kind:     global_buffer
      - .actual_access:  read_only
        .address_space:  global
        .offset:         32
        .size:           8
        .value_kind:     global_buffer
      - .offset:         40
        .size:           8
        .value_kind:     by_value
      - .actual_access:  read_only
        .address_space:  global
        .offset:         48
        .size:           8
        .value_kind:     global_buffer
      - .actual_access:  read_only
        .address_space:  global
        .offset:         56
        .size:           8
        .value_kind:     global_buffer
      - .offset:         64
        .size:           4
        .value_kind:     by_value
      - .actual_access:  read_only
        .address_space:  global
        .offset:         72
        .size:           8
        .value_kind:     global_buffer
      - .actual_access:  read_only
        .address_space:  global
        .offset:         80
        .size:           8
        .value_kind:     global_buffer
      - .actual_access:  read_only
        .address_space:  global
        .offset:         88
        .size:           8
        .value_kind:     global_buffer
      - .actual_access:  write_only
        .address_space:  global
        .offset:         96
        .size:           8
        .value_kind:     global_buffer
    .group_segment_fixed_size: 0
    .kernarg_segment_align: 8
    .kernarg_segment_size: 104
    .language:       OpenCL C
    .language_version:
      - 2
      - 0
    .max_flat_workgroup_size: 64
    .name:           fft_rtc_fwd_len320_factors_10_4_4_2_wgs_64_tpt_16_halfLds_dp_op_CI_CI_sbrr_dirReg
    .private_segment_fixed_size: 0
    .sgpr_count:     36
    .sgpr_spill_count: 0
    .symbol:         fft_rtc_fwd_len320_factors_10_4_4_2_wgs_64_tpt_16_halfLds_dp_op_CI_CI_sbrr_dirReg.kd
    .uniform_work_group_size: 1
    .uses_dynamic_stack: false
    .vgpr_count:     129
    .vgpr_spill_count: 0
    .wavefront_size: 64
amdhsa.target:   amdgcn-amd-amdhsa--gfx906
amdhsa.version:
  - 1
  - 2
...

	.end_amdgpu_metadata
